;; amdgpu-corpus repo=zjin-lcf/HeCBench kind=compiled arch=gfx1201 opt=O3
	.amdgcn_target "amdgcn-amd-amdhsa--gfx1201"
	.amdhsa_code_object_version 6
	.text
	.protected	_Z7kernel1iiiiiiiiiiiiddPKdS0_S0_S0_S0_PdS0_S0_S0_S0_S0_S0_S0_ ; -- Begin function _Z7kernel1iiiiiiiiiiiiddPKdS0_S0_S0_S0_PdS0_S0_S0_S0_S0_S0_S0_
	.globl	_Z7kernel1iiiiiiiiiiiiddPKdS0_S0_S0_S0_PdS0_S0_S0_S0_S0_S0_S0_
	.p2align	8
	.type	_Z7kernel1iiiiiiiiiiiiddPKdS0_S0_S0_S0_PdS0_S0_S0_S0_S0_S0_S0_,@function
_Z7kernel1iiiiiiiiiiiiddPKdS0_S0_S0_S0_PdS0_S0_S0_S0_S0_S0_S0_: ; @_Z7kernel1iiiiiiiiiiiiddPKdS0_S0_S0_S0_PdS0_S0_S0_S0_S0_S0_S0_
; %bb.0:
	s_clause 0x1
	s_load_b256 s[20:27], s[0:1], 0x0
	s_load_b64 s[2:3], s[0:1], 0xb4
	v_and_b32_e32 v88, 0x3ff, v0
	v_bfe_u32 v79, v0, 10, 10
	s_and_b32 s40, ttmp7, 0xffff
	v_bfe_u32 v0, v0, 20, 10
	s_lshr_b32 s4, ttmp7, 16
	s_wait_kmcnt 0x0
	v_add_nc_u32_e32 v51, s20, v88
	s_and_b32 s5, s2, 0xffff
	s_lshr_b32 s2, s2, 16
	s_and_b32 s3, s3, 0xffff
	s_mul_i32 s33, ttmp9, s5
	s_mul_i32 s40, s40, s2
	s_mul_i32 s4, s4, s3
	v_add_nc_u32_e32 v27, s33, v51
	v_add3_u32 v26, s40, s22, v79
	v_add3_u32 v48, s4, s24, v0
	s_delay_alu instid0(VALU_DEP_3) | instskip(NEXT) | instid1(VALU_DEP_3)
	v_cmp_gt_i32_e32 vcc_lo, s21, v27
	v_cmp_gt_i32_e64 s2, s23, v26
	s_delay_alu instid0(VALU_DEP_3) | instskip(SKIP_1) | instid1(SALU_CYCLE_1)
	v_cmp_gt_i32_e64 s3, s25, v48
	s_and_b32 s2, vcc_lo, s2
	s_and_b32 s2, s2, s3
	s_delay_alu instid0(SALU_CYCLE_1)
	s_and_saveexec_b32 s3, s2
	s_cbranch_execz .LBB0_12
; %bb.1:
	s_clause 0x4
	s_load_b128 s[36:39], s[0:1], 0x98
	s_load_b64 s[24:25], s[0:1], 0x80
	s_load_b256 s[4:11], s[0:1], 0x60
	s_load_b256 s[12:19], s[0:1], 0x40
	s_load_b128 s[28:31], s[0:1], 0x20
	v_subrev_nc_u32_e32 v0, s26, v27
	s_sub_co_i32 s34, s27, s26
	v_add_nc_u32_e32 v47, -2, v27
	s_not_b32 s2, s34
	s_add_co_i32 s34, s34, 1
	v_ashrrev_i32_e32 v1, 31, v0
	v_mul_lo_u32 v37, v26, s34
	v_add_nc_u32_e32 v70, -1, v27
	v_add_nc_u32_e32 v71, 1, v27
	v_add_nc_u32_e32 v78, 2, v27
	v_lshlrev_b64_e32 v[0:1], 3, v[0:1]
	s_mov_b32 s35, 1
	s_sub_co_i32 s43, 0, s26
	s_wait_kmcnt 0x0
	s_delay_alu instid0(VALU_DEP_1) | instskip(NEXT) | instid1(VALU_DEP_1)
	v_add_co_u32 v4, vcc_lo, s36, v0
	v_add_co_ci_u32_e64 v5, null, s37, v1, vcc_lo
	s_mul_i32 s23, s28, s2
	s_sub_co_i32 s3, s31, s30
	s_clause 0x2
	global_load_b64 v[86:87], v[4:5], off offset:16
	global_load_b128 v[0:3], v[4:5], off
	global_load_b128 v[12:15], v[4:5], off offset:-16
	v_subrev_nc_u32_e32 v4, s28, v26
	s_add_co_i32 s3, s3, 1
	v_add_nc_u32_e32 v26, -2, v26
	s_delay_alu instid0(VALU_DEP_2) | instskip(NEXT) | instid1(VALU_DEP_1)
	v_ashrrev_i32_e32 v5, 31, v4
	v_lshlrev_b64_e32 v[4:5], 3, v[4:5]
	s_delay_alu instid0(VALU_DEP_1) | instskip(SKIP_1) | instid1(VALU_DEP_2)
	v_add_co_u32 v8, vcc_lo, s38, v4
	s_wait_alu 0xfffd
	v_add_co_ci_u32_e64 v9, null, s39, v5, vcc_lo
	s_sub_co_i32 s39, s29, s28
	s_clause 0x2
	global_load_b64 v[96:97], v[8:9], off offset:16
	global_load_b128 v[4:7], v[8:9], off
	global_load_b128 v[8:11], v[8:9], off offset:-16
	s_wait_alu 0xfffe
	s_add_co_i32 s39, s39, 1
	s_wait_alu 0xfffe
	s_mul_i32 s21, s39, s34
	s_wait_alu 0xfffe
	s_mul_i32 s2, s21, s30
	v_mul_lo_u32 v29, v48, s21
	s_add_co_i32 s2, s26, s2
	s_delay_alu instid0(SALU_CYCLE_1) | instskip(NEXT) | instid1(SALU_CYCLE_1)
	s_sub_co_i32 s2, s23, s2
	v_add_nc_u32_e32 v30, s2, v27
	s_delay_alu instid0(VALU_DEP_2) | instskip(NEXT) | instid1(VALU_DEP_2)
	v_add3_u32 v45, v29, v37, s2
	v_add_nc_u32_e32 v28, v37, v30
	s_delay_alu instid0(VALU_DEP_2) | instskip(NEXT) | instid1(VALU_DEP_2)
	v_add_nc_u32_e32 v39, v45, v71
	v_add_nc_u32_e32 v16, v28, v29
	s_delay_alu instid0(VALU_DEP_2) | instskip(NEXT) | instid1(VALU_DEP_2)
	v_ashrrev_i32_e32 v40, 31, v39
	v_ashrrev_i32_e32 v17, 31, v16
	s_delay_alu instid0(VALU_DEP_2) | instskip(NEXT) | instid1(VALU_DEP_2)
	v_lshlrev_b64_e32 v[39:40], 3, v[39:40]
	v_lshlrev_b64_e32 v[20:21], 3, v[16:17]
	s_delay_alu instid0(VALU_DEP_1) | instskip(SKIP_1) | instid1(VALU_DEP_2)
	v_add_co_u32 v16, vcc_lo, s4, v20
	s_wait_alu 0xfffd
	v_add_co_ci_u32_e64 v17, null, s5, v21, vcc_lo
	s_mul_i32 s4, s3, s21
	s_wait_alu 0xfffe
	s_sub_co_i32 s36, s2, s4
	global_load_b64 v[16:17], v[16:17], off
	s_wait_alu 0xfffe
	s_ashr_i32 s2, s36, 31
	s_ashr_i32 s5, s4, 31
	v_add_nc_u32_e32 v74, s36, v27
	s_lshl_b32 s37, s4, 1
	s_mul_i32 s41, s4, 3
	s_wait_alu 0xfffe
	s_ashr_i32 s38, s37, 31
	s_ashr_i32 s42, s41, 31
	v_add_nc_u32_e32 v90, v37, v74
	s_delay_alu instid0(VALU_DEP_1) | instskip(SKIP_3) | instid1(VALU_DEP_1)
	v_add_nc_u32_e32 v89, v90, v29
	s_wait_loadcnt 0x0
	scratch_store_b64 off, v[16:17], off offset:8 ; 8-byte Folded Spill
	v_div_scale_f64 v[16:17], null, v[4:5], v[4:5], 1.0
	v_rcp_f64_e32 v[18:19], v[16:17]
	s_delay_alu instid0(TRANS32_DEP_1) | instskip(NEXT) | instid1(VALU_DEP_1)
	v_fma_f64 v[22:23], -v[16:17], v[18:19], 1.0
	v_fma_f64 v[18:19], v[18:19], v[22:23], v[18:19]
	s_delay_alu instid0(VALU_DEP_1) | instskip(NEXT) | instid1(VALU_DEP_1)
	v_fma_f64 v[22:23], -v[16:17], v[18:19], 1.0
	v_fma_f64 v[18:19], v[18:19], v[22:23], v[18:19]
	v_div_scale_f64 v[22:23], vcc_lo, 1.0, v[4:5], 1.0
	s_delay_alu instid0(VALU_DEP_1) | instskip(NEXT) | instid1(VALU_DEP_1)
	v_mul_f64_e32 v[24:25], v[22:23], v[18:19]
	v_fma_f64 v[16:17], -v[16:17], v[24:25], v[22:23]
	s_wait_alu 0xfffd
	s_delay_alu instid0(VALU_DEP_1) | instskip(NEXT) | instid1(VALU_DEP_1)
	v_div_fmas_f64 v[16:17], v[16:17], v[18:19], v[24:25]
	v_div_fixup_f64 v[122:123], v[16:17], v[4:5], 1.0
	v_div_scale_f64 v[16:17], null, v[0:1], v[0:1], 1.0
	s_delay_alu instid0(VALU_DEP_1) | instskip(NEXT) | instid1(TRANS32_DEP_1)
	v_rcp_f64_e32 v[18:19], v[16:17]
	v_fma_f64 v[22:23], -v[16:17], v[18:19], 1.0
	s_delay_alu instid0(VALU_DEP_1) | instskip(NEXT) | instid1(VALU_DEP_1)
	v_fma_f64 v[18:19], v[18:19], v[22:23], v[18:19]
	v_fma_f64 v[22:23], -v[16:17], v[18:19], 1.0
	s_delay_alu instid0(VALU_DEP_1) | instskip(SKIP_1) | instid1(VALU_DEP_1)
	v_fma_f64 v[18:19], v[18:19], v[22:23], v[18:19]
	v_div_scale_f64 v[22:23], vcc_lo, 1.0, v[0:1], 1.0
	v_mul_f64_e32 v[24:25], v[22:23], v[18:19]
	s_delay_alu instid0(VALU_DEP_1) | instskip(SKIP_1) | instid1(VALU_DEP_1)
	v_fma_f64 v[16:17], -v[16:17], v[24:25], v[22:23]
	s_wait_alu 0xfffd
	v_div_fmas_f64 v[16:17], v[16:17], v[18:19], v[24:25]
	s_delay_alu instid0(VALU_DEP_1) | instskip(SKIP_1) | instid1(VALU_DEP_1)
	v_div_fixup_f64 v[52:53], v[16:17], v[0:1], 1.0
	v_add_nc_u32_e32 v16, v45, v47
	v_ashrrev_i32_e32 v17, 31, v16
	s_delay_alu instid0(VALU_DEP_1) | instskip(NEXT) | instid1(VALU_DEP_1)
	v_lshlrev_b64_e32 v[16:17], 3, v[16:17]
	v_add_co_u32 v18, vcc_lo, s14, v16
	s_wait_alu 0xfffd
	s_delay_alu instid0(VALU_DEP_2)
	v_add_co_ci_u32_e64 v19, null, s15, v17, vcc_lo
	v_add_co_u32 v16, vcc_lo, s16, v16
	s_wait_alu 0xfffd
	v_add_co_ci_u32_e64 v17, null, s17, v17, vcc_lo
	global_load_b64 v[116:117], v[18:19], off
	v_ashrrev_i32_e32 v18, 31, v27
	v_add_co_u32 v19, vcc_lo, v27, s36
	global_load_b64 v[16:17], v[16:17], off
	s_wait_alu 0xfffd
	v_add_co_ci_u32_e64 v18, null, s2, v18, vcc_lo
	v_add_co_u32 v19, vcc_lo, v19, v37
	s_mov_b32 s2, 0x55555555
	s_mov_b32 s3, 0x3fc55555
	v_mul_f64_e32 v[62:63], v[52:53], v[122:123]
	s_wait_loadcnt 0x0
	v_fma_f64 v[22:23], v[116:117], 2.0, v[16:17]
	scratch_store_b64 off, v[16:17], off offset:184 ; 8-byte Folded Spill
	v_ashrrev_i32_e32 v17, 31, v37
	v_ashrrev_i32_e32 v16, 31, v29
	s_wait_alu 0xfffd
	s_delay_alu instid0(VALU_DEP_2) | instskip(SKIP_2) | instid1(VALU_DEP_2)
	v_add_co_ci_u32_e64 v17, null, v18, v17, vcc_lo
	v_add_co_u32 v18, vcc_lo, v19, v29
	s_wait_alu 0xfffd
	v_add_co_ci_u32_e64 v17, null, v17, v16, vcc_lo
	s_delay_alu instid0(VALU_DEP_2) | instskip(SKIP_1) | instid1(VALU_DEP_2)
	v_add_co_u32 v16, vcc_lo, v18, s4
	s_wait_alu 0xfffd
	v_add_co_ci_u32_e64 v17, null, s5, v17, vcc_lo
	s_delay_alu instid0(VALU_DEP_1) | instskip(NEXT) | instid1(VALU_DEP_1)
	v_lshlrev_b64_e32 v[16:17], 3, v[16:17]
	v_add_co_u32 v16, vcc_lo, s18, v16
	s_wait_alu 0xfffd
	s_delay_alu instid0(VALU_DEP_2) | instskip(SKIP_4) | instid1(VALU_DEP_1)
	v_add_co_ci_u32_e64 v17, null, s19, v17, vcc_lo
	global_load_b128 v[16:19], v[16:17], off offset:-16
	scratch_store_b64 off, v[22:23], off offset:200 ; 8-byte Folded Spill
	s_wait_loadcnt 0x0
	v_mul_f64_e32 v[22:23], v[22:23], v[16:17]
	v_mul_f64_e32 v[31:32], v[16:17], v[22:23]
	v_add_nc_u32_e32 v22, v45, v70
	v_add_nc_u32_e32 v45, v45, v78
	s_delay_alu instid0(VALU_DEP_2) | instskip(NEXT) | instid1(VALU_DEP_2)
	v_ashrrev_i32_e32 v23, 31, v22
	v_ashrrev_i32_e32 v46, 31, v45
	s_delay_alu instid0(VALU_DEP_2) | instskip(NEXT) | instid1(VALU_DEP_2)
	v_lshlrev_b64_e32 v[22:23], 3, v[22:23]
	v_lshlrev_b64_e32 v[45:46], 3, v[45:46]
	s_delay_alu instid0(VALU_DEP_2) | instskip(SKIP_1) | instid1(VALU_DEP_3)
	v_add_co_u32 v24, vcc_lo, s14, v22
	s_wait_alu 0xfffd
	v_add_co_ci_u32_e64 v25, null, s15, v23, vcc_lo
	v_add_co_u32 v22, vcc_lo, s16, v22
	s_wait_alu 0xfffd
	v_add_co_ci_u32_e64 v23, null, s17, v23, vcc_lo
	global_load_b64 v[118:119], v[24:25], off
	global_load_b64 v[22:23], v[22:23], off
	s_wait_loadcnt 0x0
	scratch_store_b64 off, v[22:23], off offset:208 ; 8-byte Folded Spill
	v_fma_f64 v[22:23], v[118:119], 2.0, v[22:23]
	scratch_store_b64 off, v[22:23], off offset:224 ; 8-byte Folded Spill
	v_mul_f64_e32 v[22:23], v[22:23], v[18:19]
	s_delay_alu instid0(VALU_DEP_1)
	v_mul_f64_e32 v[33:34], v[18:19], v[22:23]
	v_add_co_u32 v22, vcc_lo, s14, v20
	s_wait_alu 0xfffd
	v_add_co_ci_u32_e64 v23, null, s15, v21, vcc_lo
	v_add_co_u32 v20, vcc_lo, s16, v20
	s_wait_alu 0xfffd
	v_add_co_ci_u32_e64 v21, null, s17, v21, vcc_lo
	global_load_b64 v[41:42], v[22:23], off
	global_load_b64 v[20:21], v[20:21], off
	v_mul_f64_e32 v[35:36], v[14:15], v[33:34]
	s_wait_loadcnt 0x0
	v_fma_f64 v[24:25], v[41:42], 2.0, v[20:21]
	v_add_nc_u32_e32 v20, s4, v89
	s_delay_alu instid0(VALU_DEP_1) | instskip(NEXT) | instid1(VALU_DEP_1)
	v_ashrrev_i32_e32 v21, 31, v20
	v_lshlrev_b64_e32 v[58:59], 3, v[20:21]
	s_delay_alu instid0(VALU_DEP_1) | instskip(SKIP_1) | instid1(VALU_DEP_2)
	v_add_co_u32 v20, vcc_lo, s18, v58
	s_wait_alu 0xfffd
	v_add_co_ci_u32_e64 v21, null, s19, v59, vcc_lo
	v_add_co_u32 v43, vcc_lo, s14, v39
	s_wait_alu 0xfffd
	v_add_co_ci_u32_e64 v44, null, s15, v40, vcc_lo
	;; [unrolled: 3-line block ×3, first 2 shown]
	s_clause 0x1
	global_load_b64 v[80:81], v[20:21], off offset:16
	global_load_b128 v[20:23], v[20:21], off
	global_load_b64 v[120:121], v[43:44], off
	v_add_co_u32 v49, vcc_lo, s14, v45
	global_load_b64 v[39:40], v[39:40], off
	s_wait_alu 0xfffd
	v_add_co_ci_u32_e64 v50, null, s15, v46, vcc_lo
	v_add_co_u32 v45, vcc_lo, s16, v45
	s_wait_alu 0xfffd
	v_add_co_ci_u32_e64 v46, null, s17, v46, vcc_lo
	global_load_b64 v[91:92], v[49:50], off
	scratch_store_b64 off, v[58:59], off offset:16 ; 8-byte Folded Spill
	global_load_b64 v[45:46], v[45:46], off
	s_wait_loadcnt 0x4
	v_mul_f64_e32 v[24:25], v[24:25], v[20:21]
	s_wait_loadcnt 0x2
	scratch_store_b64 off, v[39:40], off offset:232 ; 8-byte Folded Spill
	v_fma_f64 v[39:40], v[120:121], 2.0, v[39:40]
	s_wait_loadcnt 0x0
	scratch_store_b64 off, v[45:46], off offset:88 ; 8-byte Folded Spill
	v_fma_f64 v[45:46], v[91:92], 2.0, v[45:46]
	v_mul_f64_e32 v[24:25], v[20:21], v[24:25]
	scratch_store_b64 off, v[39:40], off offset:248 ; 8-byte Folded Spill
	v_mul_f64_e32 v[39:40], v[39:40], v[22:23]
	scratch_store_b64 off, v[45:46], off offset:104 ; 8-byte Folded Spill
	v_mul_f64_e32 v[45:46], v[45:46], v[80:81]
	v_mul_f64_e32 v[37:38], v[0:1], v[24:25]
	;; [unrolled: 1-line block ×4, first 2 shown]
	s_delay_alu instid0(VALU_DEP_4) | instskip(NEXT) | instid1(VALU_DEP_4)
	v_mul_f64_e32 v[45:46], v[80:81], v[45:46]
	v_fma_f64 v[49:50], v[12:13], v[31:32], v[37:38]
	v_fma_f64 v[33:34], v[14:15], v[33:34], v[37:38]
	s_delay_alu instid0(VALU_DEP_4) | instskip(NEXT) | instid1(VALU_DEP_3)
	v_mul_f64_e32 v[43:44], v[2:3], v[39:40]
	v_fma_f64 v[49:50], 0xbfe80000, v[49:50], v[35:36]
	s_delay_alu instid0(VALU_DEP_2) | instskip(NEXT) | instid1(VALU_DEP_1)
	v_fma_f64 v[31:32], v[12:13], v[31:32], v[43:44]
	v_fma_f64 v[56:57], 0x40080000, v[33:34], v[31:32]
	;; [unrolled: 1-line block ×4, first 2 shown]
	s_delay_alu instid0(VALU_DEP_1) | instskip(SKIP_1) | instid1(VALU_DEP_1)
	v_fma_f64 v[35:36], 0x40080000, v[33:34], v[31:32]
	v_fma_f64 v[31:32], v[86:87], v[45:46], v[37:38]
	;; [unrolled: 1-line block ×3, first 2 shown]
	v_add_co_u32 v31, vcc_lo, s12, v58
	s_wait_alu 0xfffd
	v_add_co_ci_u32_e64 v32, null, s13, v59, vcc_lo
	s_clause 0x2
	global_load_b64 v[45:46], v[31:32], off offset:16
	global_load_b128 v[37:40], v[31:32], off
	global_load_b128 v[31:34], v[31:32], off offset:-16
	s_clause 0x4
	scratch_store_b64 off, v[116:117], off offset:192
	scratch_store_b64 off, v[118:119], off offset:216
	;; [unrolled: 1-line block ×5, first 2 shown]
	s_wait_loadcnt 0x0
	v_add_f64_e64 v[33:34], v[33:34], -v[37:38]
	v_add_f64_e64 v[31:32], v[31:32], -v[37:38]
	s_delay_alu instid0(VALU_DEP_2) | instskip(NEXT) | instid1(VALU_DEP_1)
	v_mul_f64_e32 v[33:34], v[56:57], v[33:34]
	v_fma_f64 v[31:32], v[49:50], v[31:32], v[33:34]
	v_add_f64_e64 v[33:34], v[39:40], -v[37:38]
	s_delay_alu instid0(VALU_DEP_1) | instskip(SKIP_1) | instid1(VALU_DEP_1)
	v_fma_f64 v[31:32], v[35:36], v[33:34], v[31:32]
	v_add_f64_e64 v[33:34], v[45:46], -v[37:38]
	v_fma_f64 v[31:32], v[43:44], v[33:34], v[31:32]
	v_mul_lo_u32 v33, v26, s34
	s_delay_alu instid0(VALU_DEP_1) | instskip(SKIP_3) | instid1(VALU_DEP_4)
	v_add_nc_u32_e32 v68, v29, v33
	v_add3_u32 v106, v33, v74, v29
	v_add_nc_u32_e32 v35, s34, v33
	v_mul_f64_e32 v[33:34], v[41:42], v[20:21]
	v_add_nc_u32_e32 v26, v68, v30
	s_delay_alu instid0(VALU_DEP_3) | instskip(SKIP_2) | instid1(VALU_DEP_4)
	v_add_nc_u32_e32 v72, v29, v35
	v_add3_u32 v107, v35, v74, v29
	v_lshl_add_u32 v35, s34, 1, v35
	v_ashrrev_i32_e32 v27, 31, v26
	s_delay_alu instid0(VALU_DEP_2) | instskip(NEXT) | instid1(VALU_DEP_2)
	v_add_nc_u32_e32 v73, v29, v35
	v_lshlrev_b64_e32 v[26:27], 3, v[26:27]
	v_add3_u32 v108, v35, v74, v29
	v_add_nc_u32_e32 v35, s34, v35
	s_delay_alu instid0(VALU_DEP_1) | instskip(SKIP_1) | instid1(VALU_DEP_1)
	v_add_nc_u32_e32 v69, v29, v35
	v_add3_u32 v109, v35, v74, v29
	v_add_nc_u32_e32 v29, s4, v109
	s_wait_alu 0xfffe
	v_mul_f64_e32 v[31:32], s[2:3], v[31:32]
	v_mul_f64_e32 v[41:42], v[20:21], v[33:34]
	v_add_nc_u32_e32 v20, v73, v30
	s_delay_alu instid0(VALU_DEP_1) | instskip(NEXT) | instid1(VALU_DEP_1)
	v_ashrrev_i32_e32 v21, 31, v20
	v_lshlrev_b64_e32 v[49:50], 3, v[20:21]
	v_fma_f64 v[39:40], v[122:123], v[31:32], 0
	v_add_co_u32 v31, vcc_lo, s14, v26
	s_wait_alu 0xfffd
	v_add_co_ci_u32_e64 v32, null, s15, v27, vcc_lo
	global_load_b64 v[100:101], v[31:32], off
	v_add_nc_u32_e32 v31, s4, v106
	v_mul_f64_e32 v[60:61], v[4:5], v[41:42]
	s_delay_alu instid0(VALU_DEP_2) | instskip(NEXT) | instid1(VALU_DEP_1)
	v_ashrrev_i32_e32 v32, 31, v31
	v_lshlrev_b64_e32 v[43:44], 3, v[31:32]
	s_delay_alu instid0(VALU_DEP_1) | instskip(SKIP_1) | instid1(VALU_DEP_2)
	v_add_co_u32 v31, vcc_lo, s18, v43
	s_wait_alu 0xfffd
	v_add_co_ci_u32_e64 v32, null, s19, v44, vcc_lo
	global_load_b64 v[124:125], v[31:32], off
	s_wait_loadcnt 0x0
	v_mul_f64_e32 v[31:32], v[100:101], v[124:125]
	s_delay_alu instid0(VALU_DEP_1) | instskip(SKIP_1) | instid1(VALU_DEP_1)
	v_mul_f64_e32 v[93:94], v[124:125], v[31:32]
	v_add_nc_u32_e32 v31, v72, v30
	v_ashrrev_i32_e32 v32, 31, v31
	s_delay_alu instid0(VALU_DEP_1) | instskip(NEXT) | instid1(VALU_DEP_1)
	v_lshlrev_b64_e32 v[45:46], 3, v[31:32]
	v_add_co_u32 v31, vcc_lo, s14, v45
	s_wait_alu 0xfffd
	s_delay_alu instid0(VALU_DEP_2) | instskip(SKIP_2) | instid1(VALU_DEP_1)
	v_add_co_ci_u32_e64 v32, null, s15, v46, vcc_lo
	global_load_b64 v[102:103], v[31:32], off
	v_add_nc_u32_e32 v31, s4, v107
	v_ashrrev_i32_e32 v32, 31, v31
	s_delay_alu instid0(VALU_DEP_1) | instskip(NEXT) | instid1(VALU_DEP_1)
	v_lshlrev_b64_e32 v[58:59], 3, v[31:32]
	v_add_co_u32 v31, vcc_lo, s18, v58
	s_wait_alu 0xfffd
	s_delay_alu instid0(VALU_DEP_2)
	v_add_co_ci_u32_e64 v32, null, s19, v59, vcc_lo
	v_add_co_u32 v20, vcc_lo, s14, v49
	s_wait_alu 0xfffd
	v_add_co_ci_u32_e64 v21, null, s15, v50, vcc_lo
	global_load_b64 v[66:67], v[31:32], off
	global_load_b64 v[98:99], v[20:21], off
	v_add_nc_u32_e32 v20, s4, v108
	s_delay_alu instid0(VALU_DEP_1) | instskip(NEXT) | instid1(VALU_DEP_1)
	v_ashrrev_i32_e32 v21, 31, v20
	v_lshlrev_b64_e32 v[76:77], 3, v[20:21]
	s_delay_alu instid0(VALU_DEP_1) | instskip(SKIP_1) | instid1(VALU_DEP_2)
	v_add_co_u32 v20, vcc_lo, s18, v76
	s_wait_alu 0xfffd
	v_add_co_ci_u32_e64 v21, null, s19, v77, vcc_lo
	global_load_b64 v[20:21], v[20:21], off
	s_wait_loadcnt 0x2
	v_mul_f64_e32 v[31:32], v[102:103], v[66:67]
	s_wait_loadcnt 0x0
	v_mul_f64_e32 v[33:34], v[98:99], v[20:21]
	s_delay_alu instid0(VALU_DEP_2) | instskip(NEXT) | instid1(VALU_DEP_2)
	v_mul_f64_e32 v[110:111], v[66:67], v[31:32]
	v_mul_f64_e32 v[112:113], v[20:21], v[33:34]
	v_add_nc_u32_e32 v33, v69, v30
	v_ashrrev_i32_e32 v30, 31, v29
	s_delay_alu instid0(VALU_DEP_2) | instskip(NEXT) | instid1(VALU_DEP_2)
	v_ashrrev_i32_e32 v34, 31, v33
	v_lshlrev_b64_e32 v[84:85], 3, v[29:30]
	s_delay_alu instid0(VALU_DEP_2) | instskip(SKIP_2) | instid1(VALU_DEP_3)
	v_lshlrev_b64_e32 v[56:57], 3, v[33:34]
	v_mul_f64_e32 v[31:32], v[10:11], v[110:111]
	v_fma_f64 v[35:36], v[10:11], v[110:111], v[60:61]
	v_add_co_u32 v33, vcc_lo, s14, v56
	s_wait_alu 0xfffd
	s_delay_alu instid0(VALU_DEP_4)
	v_add_co_ci_u32_e64 v34, null, s15, v57, vcc_lo
	v_add_co_u32 v29, vcc_lo, s18, v84
	s_wait_alu 0xfffd
	v_add_co_ci_u32_e64 v30, null, s19, v85, vcc_lo
	global_load_b64 v[104:105], v[33:34], off
	v_add_co_u32 v43, vcc_lo, s12, v43
	global_load_b64 v[54:55], v[29:30], off
	s_wait_alu 0xfffd
	v_add_co_ci_u32_e64 v44, null, s13, v44, vcc_lo
	v_add_co_u32 v58, vcc_lo, s12, v58
	s_wait_alu 0xfffd
	v_add_co_ci_u32_e64 v59, null, s13, v59, vcc_lo
	s_clause 0x1
	global_load_b64 v[43:44], v[43:44], off
	global_load_b64 v[58:59], v[58:59], off
	v_mul_f64_e32 v[82:83], v[6:7], v[112:113]
	s_wait_loadcnt 0x2
	v_mul_f64_e32 v[29:30], v[104:105], v[54:55]
	s_wait_loadcnt 0x1
	v_add_f64_e64 v[43:44], v[43:44], -v[37:38]
	s_wait_loadcnt 0x0
	v_add_f64_e64 v[58:59], v[58:59], -v[37:38]
	s_delay_alu instid0(VALU_DEP_3) | instskip(SKIP_4) | instid1(VALU_DEP_1)
	v_mul_f64_e32 v[114:115], v[54:55], v[29:30]
	v_fma_f64 v[29:30], v[8:9], v[93:94], v[60:61]
	scratch_store_b64 off, v[114:115], off offset:176 ; 8-byte Folded Spill
	v_fma_f64 v[33:34], 0xbfe80000, v[29:30], v[31:32]
	v_fma_f64 v[29:30], v[8:9], v[93:94], v[82:83]
	;; [unrolled: 1-line block ×5, first 2 shown]
	s_delay_alu instid0(VALU_DEP_3) | instskip(NEXT) | instid1(VALU_DEP_2)
	v_mul_f64_e32 v[58:59], v[35:36], v[58:59]
	v_fma_f64 v[31:32], 0x40080000, v[31:32], v[29:30]
	v_fma_f64 v[29:30], v[96:97], v[114:115], v[60:61]
	s_delay_alu instid0(VALU_DEP_3) | instskip(SKIP_3) | instid1(VALU_DEP_4)
	v_fma_f64 v[43:44], v[33:34], v[43:44], v[58:59]
	v_add_co_u32 v58, vcc_lo, s12, v76
	s_wait_alu 0xfffd
	v_add_co_ci_u32_e64 v59, null, s13, v77, vcc_lo
	v_fma_f64 v[29:30], 0xbfe80000, v[29:30], v[82:83]
	global_load_b64 v[58:59], v[58:59], off
	s_wait_loadcnt 0x0
	v_add_f64_e64 v[58:59], v[58:59], -v[37:38]
	s_delay_alu instid0(VALU_DEP_1)
	v_fma_f64 v[43:44], v[31:32], v[58:59], v[43:44]
	v_add_co_u32 v58, vcc_lo, s12, v84
	s_wait_alu 0xfffd
	v_add_co_ci_u32_e64 v59, null, s13, v85, vcc_lo
	global_load_b64 v[58:59], v[58:59], off
	s_wait_loadcnt 0x0
	v_add_f64_e64 v[37:38], v[58:59], -v[37:38]
	v_mul_f64_e32 v[58:59], v[0:1], v[41:42]
	s_delay_alu instid0(VALU_DEP_2) | instskip(NEXT) | instid1(VALU_DEP_1)
	v_fma_f64 v[37:38], v[29:30], v[37:38], v[43:44]
	v_mul_f64_e32 v[37:38], s[2:3], v[37:38]
	s_delay_alu instid0(VALU_DEP_1) | instskip(SKIP_1) | instid1(VALU_DEP_1)
	v_fma_f64 v[64:65], v[52:53], v[37:38], v[39:40]
	v_mul_f64_e32 v[37:38], v[116:117], v[16:17]
	v_mul_f64_e32 v[39:40], v[16:17], v[37:38]
	;; [unrolled: 1-line block ×3, first 2 shown]
	s_delay_alu instid0(VALU_DEP_1)
	v_mul_f64_e32 v[82:83], v[18:19], v[37:38]
	v_mul_f64_e32 v[37:38], v[120:121], v[22:23]
	s_clause 0x2
	scratch_store_b64 off, v[93:94], off offset:112
	scratch_store_b64 off, v[110:111], off offset:128
	;; [unrolled: 1-line block ×3, first 2 shown]
	v_mul_f64_e32 v[84:85], v[22:23], v[37:38]
	v_mul_f64_e32 v[37:38], v[91:92], v[80:81]
	s_clause 0x1
	scratch_store_b64 off, v[112:113], off offset:152
	scratch_store_b64 off, v[39:40], off offset:144
	v_mul_f64_e32 v[43:44], v[14:15], v[82:83]
	v_fma_f64 v[41:42], v[14:15], v[82:83], v[58:59]
	v_mul_f64_e32 v[60:61], v[2:3], v[84:85]
	v_mul_f64_e32 v[91:92], v[80:81], v[37:38]
	v_fma_f64 v[37:38], v[12:13], v[39:40], v[58:59]
	s_clause 0x2
	scratch_store_b64 off, v[84:85], off offset:136
	scratch_store_b64 off, v[86:87], off offset:32
	;; [unrolled: 1-line block ×3, first 2 shown]
	v_fma_f64 v[39:40], v[12:13], v[39:40], v[60:61]
	v_fma_f64 v[37:38], 0xbfe80000, v[37:38], v[43:44]
	s_delay_alu instid0(VALU_DEP_2) | instskip(SKIP_2) | instid1(VALU_DEP_1)
	v_fma_f64 v[39:40], 0x40080000, v[41:42], v[39:40]
	v_fma_f64 v[41:42], v[86:87], v[91:92], v[43:44]
	;; [unrolled: 1-line block ×5, first 2 shown]
	v_ashrrev_i32_e32 v91, 31, v89
	v_add_co_u32 v58, vcc_lo, v89, s37
	s_wait_alu 0xfffd
	s_delay_alu instid0(VALU_DEP_2) | instskip(NEXT) | instid1(VALU_DEP_1)
	v_add_co_ci_u32_e64 v59, null, s38, v91, vcc_lo
	v_lshlrev_b64_e32 v[58:59], 3, v[58:59]
	s_delay_alu instid0(VALU_DEP_1) | instskip(SKIP_1) | instid1(VALU_DEP_2)
	v_add_co_u32 v58, vcc_lo, s12, v58
	s_wait_alu 0xfffd
	v_add_co_ci_u32_e64 v59, null, s13, v59, vcc_lo
	global_load_b64 v[58:59], v[58:59], off offset:-16
	v_fma_f64 v[43:44], 0xbfe80000, v[43:44], v[60:61]
	v_add_nc_u32_e32 v60, s37, v89
	s_delay_alu instid0(VALU_DEP_1) | instskip(NEXT) | instid1(VALU_DEP_1)
	v_ashrrev_i32_e32 v61, 31, v60
	v_lshlrev_b64_e32 v[156:157], 3, v[60:61]
	s_delay_alu instid0(VALU_DEP_1) | instskip(SKIP_1) | instid1(VALU_DEP_2)
	v_add_co_u32 v86, vcc_lo, s12, v156
	s_wait_alu 0xfffd
	v_add_co_ci_u32_e64 v87, null, s13, v157, vcc_lo
	v_add_co_u32 v26, vcc_lo, s16, v26
	s_wait_alu 0xfffd
	v_add_co_ci_u32_e64 v27, null, s17, v27, vcc_lo
	s_clause 0x1
	global_load_b128 v[82:85], v[86:87], off offset:8
	global_load_b128 v[92:95], v[86:87], off offset:-8
	v_add_co_u32 v45, vcc_lo, s16, v45
	global_load_b64 v[26:27], v[26:27], off
	s_wait_alu 0xfffd
	v_add_co_ci_u32_e64 v46, null, s17, v46, vcc_lo
	v_add_co_u32 v49, vcc_lo, s16, v49
	s_wait_alu 0xfffd
	v_add_co_ci_u32_e64 v50, null, s17, v50, vcc_lo
	v_add_co_u32 v56, vcc_lo, s16, v56
	s_wait_alu 0xfffd
	v_add_co_ci_u32_e64 v57, null, s17, v57, vcc_lo
	scratch_store_b64 off, v[100:101], off offset:48 ; 8-byte Folded Spill
	s_wait_loadcnt 0x0
	scratch_store_b64 off, v[26:27], off    ; 8-byte Folded Spill
	global_load_b64 v[45:46], v[45:46], off
	v_fma_f64 v[26:27], v[100:101], 2.0, v[26:27]
	scratch_store_b64 off, v[124:125], off offset:560 ; 8-byte Folded Spill
	v_add_f64_e64 v[86:87], v[92:93], -v[94:95]
	v_add_f64_e64 v[58:59], v[58:59], -v[94:95]
	;; [unrolled: 1-line block ×3, first 2 shown]
	v_add_nc_u32_e32 v92, s23, v51
	scratch_store_b64 off, v[26:27], off offset:320 ; 8-byte Folded Spill
	v_mul_f64_e32 v[26:27], v[124:125], v[26:27]
	v_mul_f64_e32 v[86:87], v[39:40], v[86:87]
	scratch_store_b64 off, v[102:103], off offset:56 ; 8-byte Folded Spill
	s_wait_loadcnt 0x0
	scratch_store_b64 off, v[45:46], off offset:264 ; 8-byte Folded Spill
	global_load_b64 v[49:50], v[49:50], off
	v_fma_f64 v[45:46], v[102:103], 2.0, v[45:46]
	scratch_store_b64 off, v[66:67], off offset:272 ; 8-byte Folded Spill
	v_fma_f64 v[58:59], v[37:38], v[58:59], v[86:87]
	v_mul_f64_e32 v[26:27], v[124:125], v[26:27]
	scratch_store_b64 off, v[45:46], off offset:312 ; 8-byte Folded Spill
	v_mul_f64_e32 v[45:46], v[66:67], v[45:46]
	v_fma_f64 v[58:59], v[41:42], v[82:83], v[58:59]
	v_add_f64_e64 v[82:83], v[84:85], -v[94:95]
	v_fma_f64 v[86:87], v[8:9], v[26:27], v[24:25]
	scratch_store_b64 off, v[98:99], off offset:40 ; 8-byte Folded Spill
	s_wait_loadcnt 0x0
	scratch_store_b64 off, v[49:50], off offset:288 ; 8-byte Folded Spill
	v_fma_f64 v[49:50], v[98:99], 2.0, v[49:50]
	scratch_store_b64 off, v[20:21], off offset:280 ; 8-byte Folded Spill
	v_fma_f64 v[58:59], v[43:44], v[82:83], v[58:59]
	v_mul_f64_e32 v[45:46], v[66:67], v[45:46]
	scratch_store_b64 off, v[49:50], off offset:296 ; 8-byte Folded Spill
	v_mul_f64_e32 v[49:50], v[20:21], v[49:50]
	v_mul_f64_e32 v[58:59], s[2:3], v[58:59]
	s_delay_alu instid0(VALU_DEP_2)
	v_mul_f64_e32 v[49:50], v[20:21], v[49:50]
	global_load_b64 v[20:21], v[56:57], off
	v_fma_f64 v[82:83], v[122:123], v[58:59], 0
	v_mul_f64_e32 v[58:59], v[10:11], v[45:46]
	v_fma_f64 v[45:46], v[10:11], v[45:46], v[24:25]
	scratch_store_b64 off, v[104:105], off offset:64 ; 8-byte Folded Spill
	s_wait_loadcnt 0x0
	scratch_store_b64 off, v[20:21], off offset:488 ; 8-byte Folded Spill
	v_fma_f64 v[56:57], v[104:105], 2.0, v[20:21]
	v_mul_f64_e32 v[84:85], v[6:7], v[49:50]
	v_fma_f64 v[49:50], v[6:7], v[49:50], v[24:25]
	v_fma_f64 v[86:87], 0xbfe80000, v[86:87], v[58:59]
	s_clause 0x6
	scratch_store_b128 off, v[8:11], off offset:424
	scratch_store_b64 off, v[96:97], off offset:24
	scratch_store_b32 off, v106, off offset:72
	scratch_store_b32 off, v107, off offset:76
	;; [unrolled: 1-line block ×4, first 2 shown]
	scratch_store_b64 off, v[56:57], off offset:304
	v_mul_f64_e32 v[56:57], v[54:55], v[56:57]
	v_fma_f64 v[26:27], v[8:9], v[26:27], v[84:85]
	s_delay_alu instid0(VALU_DEP_2) | instskip(NEXT) | instid1(VALU_DEP_2)
	v_mul_f64_e32 v[56:57], v[54:55], v[56:57]
	v_fma_f64 v[26:27], 0x40080000, v[45:46], v[26:27]
	s_delay_alu instid0(VALU_DEP_2) | instskip(SKIP_2) | instid1(VALU_DEP_1)
	v_fma_f64 v[45:46], v[96:97], v[56:57], v[58:59]
	v_fma_f64 v[24:25], v[96:97], v[56:57], v[24:25]
	v_add_nc_u32_e32 v58, s37, v106
	v_ashrrev_i32_e32 v59, 31, v58
	s_delay_alu instid0(VALU_DEP_1)
	v_lshlrev_b64_e32 v[56:57], 3, v[58:59]
	scratch_store_b64 off, v[56:57], off offset:344 ; 8-byte Folded Spill
	v_fma_f64 v[45:46], 0x40080000, v[49:50], v[45:46]
	v_add_co_u32 v49, vcc_lo, s12, v56
	v_add_nc_u32_e32 v56, s37, v107
	s_wait_alu 0xfffd
	v_add_co_ci_u32_e64 v50, null, s13, v57, vcc_lo
	v_fma_f64 v[24:25], 0xbfe80000, v[24:25], v[84:85]
	s_delay_alu instid0(VALU_DEP_3) | instskip(SKIP_2) | instid1(VALU_DEP_1)
	v_ashrrev_i32_e32 v57, 31, v56
	global_load_b64 v[49:50], v[49:50], off
	v_lshlrev_b64_e32 v[66:67], 3, v[56:57]
	v_add_co_u32 v84, vcc_lo, s12, v66
	s_wait_alu 0xfffd
	s_delay_alu instid0(VALU_DEP_2)
	v_add_co_ci_u32_e64 v85, null, s13, v67, vcc_lo
	scratch_store_b64 off, v[66:67], off offset:336 ; 8-byte Folded Spill
	global_load_b64 v[84:85], v[84:85], off
	s_wait_loadcnt 0x1
	v_add_f64_e64 v[49:50], v[49:50], -v[94:95]
	s_wait_loadcnt 0x0
	v_add_f64_e64 v[84:85], v[84:85], -v[94:95]
	s_delay_alu instid0(VALU_DEP_1) | instskip(NEXT) | instid1(VALU_DEP_1)
	v_mul_f64_e32 v[26:27], v[84:85], v[26:27]
	v_fma_f64 v[26:27], v[49:50], v[86:87], v[26:27]
	v_add_nc_u32_e32 v49, s37, v108
	s_delay_alu instid0(VALU_DEP_1) | instskip(NEXT) | instid1(VALU_DEP_1)
	v_ashrrev_i32_e32 v50, 31, v49
	v_lshlrev_b64_e32 v[66:67], 3, v[49:50]
	s_clause 0x1
	scratch_store_b64 off, v[54:55], off offset:552
	scratch_store_b64 off, v[66:67], off offset:328
	v_add_co_u32 v84, vcc_lo, s12, v66
	s_wait_alu 0xfffd
	v_add_co_ci_u32_e64 v85, null, s13, v67, vcc_lo
	global_load_b64 v[84:85], v[84:85], off
	s_wait_loadcnt 0x0
	v_add_f64_e64 v[84:85], v[84:85], -v[94:95]
	s_delay_alu instid0(VALU_DEP_1) | instskip(SKIP_1) | instid1(VALU_DEP_1)
	v_fma_f64 v[26:27], v[84:85], v[45:46], v[26:27]
	v_add_nc_u32_e32 v45, s37, v109
	v_ashrrev_i32_e32 v46, 31, v45
	s_delay_alu instid0(VALU_DEP_1) | instskip(NEXT) | instid1(VALU_DEP_1)
	v_lshlrev_b64_e32 v[66:67], 3, v[45:46]
	v_add_co_u32 v84, vcc_lo, s12, v66
	s_wait_alu 0xfffd
	s_delay_alu instid0(VALU_DEP_2) | instskip(SKIP_4) | instid1(VALU_DEP_1)
	v_add_co_ci_u32_e64 v85, null, s13, v67, vcc_lo
	scratch_store_b64 off, v[66:67], off offset:352 ; 8-byte Folded Spill
	global_load_b64 v[84:85], v[84:85], off
	s_wait_loadcnt 0x0
	v_add_f64_e64 v[84:85], v[84:85], -v[94:95]
	v_fma_f64 v[24:25], v[84:85], v[24:25], v[26:27]
	s_delay_alu instid0(VALU_DEP_1) | instskip(NEXT) | instid1(VALU_DEP_1)
	v_mul_f64_e32 v[24:25], s[2:3], v[24:25]
	v_fma_f64 v[8:9], v[52:53], v[24:25], v[82:83]
	v_add_co_u32 v24, vcc_lo, v89, s41
	s_wait_alu 0xfffd
	v_add_co_ci_u32_e64 v25, null, s42, v91, vcc_lo
	s_delay_alu instid0(VALU_DEP_1) | instskip(NEXT) | instid1(VALU_DEP_1)
	v_lshlrev_b64_e32 v[24:25], 3, v[24:25]
	v_add_co_u32 v24, vcc_lo, s12, v24
	s_wait_alu 0xfffd
	s_delay_alu instid0(VALU_DEP_2) | instskip(SKIP_2) | instid1(VALU_DEP_1)
	v_add_co_ci_u32_e64 v25, null, s13, v25, vcc_lo
	global_load_b64 v[86:87], v[24:25], off offset:-16
	v_add_nc_u32_e32 v24, s4, v60
	v_ashrrev_i32_e32 v25, 31, v24
	s_delay_alu instid0(VALU_DEP_1) | instskip(NEXT) | instid1(VALU_DEP_1)
	v_lshlrev_b64_e32 v[158:159], 3, v[24:25]
	v_add_co_u32 v24, vcc_lo, s12, v158
	s_wait_alu 0xfffd
	s_delay_alu instid0(VALU_DEP_2)
	v_add_co_ci_u32_e64 v25, null, s13, v159, vcc_lo
	s_clause 0x1
	global_load_b128 v[82:85], v[24:25], off offset:8
	global_load_b128 v[24:27], v[24:25], off offset:-8
	s_wait_loadcnt 0x0
	v_add_f64_e64 v[24:25], v[24:25], -v[26:27]
	v_add_f64_e64 v[59:60], v[86:87], -v[26:27]
	s_delay_alu instid0(VALU_DEP_2) | instskip(NEXT) | instid1(VALU_DEP_1)
	v_mul_f64_e32 v[24:25], v[39:40], v[24:25]
	v_fma_f64 v[24:25], v[37:38], v[59:60], v[24:25]
	v_add_f64_e64 v[37:38], v[82:83], -v[26:27]
	s_delay_alu instid0(VALU_DEP_1) | instskip(SKIP_1) | instid1(VALU_DEP_1)
	v_fma_f64 v[24:25], v[41:42], v[37:38], v[24:25]
	v_add_f64_e64 v[37:38], v[84:85], -v[26:27]
	v_fma_f64 v[24:25], v[43:44], v[37:38], v[24:25]
	v_add_nc_u32_e32 v37, s4, v58
	s_delay_alu instid0(VALU_DEP_1) | instskip(NEXT) | instid1(VALU_DEP_1)
	v_ashrrev_i32_e32 v38, 31, v37
	v_lshlrev_b64_e32 v[38:39], 3, v[37:38]
	s_delay_alu instid0(VALU_DEP_1)
	v_add_co_u32 v37, vcc_lo, s12, v38
	scratch_store_b64 off, v[38:39], off offset:368 ; 8-byte Folded Spill
	s_wait_alu 0xfffd
	v_add_co_ci_u32_e64 v38, null, s13, v39, vcc_lo
	v_add_nc_u32_e32 v39, s4, v56
	global_load_b64 v[37:38], v[37:38], off
	v_ashrrev_i32_e32 v40, 31, v39
	s_delay_alu instid0(VALU_DEP_1) | instskip(NEXT) | instid1(VALU_DEP_1)
	v_lshlrev_b64_e32 v[40:41], 3, v[39:40]
	v_add_co_u32 v39, vcc_lo, s12, v40
	scratch_store_b64 off, v[40:41], off offset:384 ; 8-byte Folded Spill
	s_wait_alu 0xfffd
	v_add_co_ci_u32_e64 v40, null, s13, v41, vcc_lo
	v_mul_f64_e32 v[24:25], s[2:3], v[24:25]
	global_load_b64 v[39:40], v[39:40], off
	v_fma_f64 v[24:25], v[122:123], v[24:25], 0
	s_wait_loadcnt 0x1
	v_add_f64_e64 v[37:38], v[37:38], -v[26:27]
	s_wait_loadcnt 0x0
	v_add_f64_e64 v[39:40], v[39:40], -v[26:27]
	s_delay_alu instid0(VALU_DEP_1) | instskip(NEXT) | instid1(VALU_DEP_1)
	v_mul_f64_e32 v[35:36], v[35:36], v[39:40]
	v_fma_f64 v[33:34], v[33:34], v[37:38], v[35:36]
	v_add_nc_u32_e32 v35, s4, v49
	s_delay_alu instid0(VALU_DEP_1) | instskip(NEXT) | instid1(VALU_DEP_1)
	v_ashrrev_i32_e32 v36, 31, v35
	v_lshlrev_b64_e32 v[36:37], 3, v[35:36]
	s_delay_alu instid0(VALU_DEP_1)
	v_add_co_u32 v35, vcc_lo, s12, v36
	scratch_store_b64 off, v[36:37], off offset:360 ; 8-byte Folded Spill
	s_wait_alu 0xfffd
	v_add_co_ci_u32_e64 v36, null, s13, v37, vcc_lo
	v_add_nc_u32_e32 v37, -1, v48
	global_load_b64 v[35:36], v[35:36], off
	s_wait_loadcnt 0x0
	v_add_f64_e64 v[35:36], v[35:36], -v[26:27]
	s_delay_alu instid0(VALU_DEP_1) | instskip(SKIP_1) | instid1(VALU_DEP_1)
	v_fma_f64 v[31:32], v[31:32], v[35:36], v[33:34]
	v_add_nc_u32_e32 v33, s4, v45
	v_ashrrev_i32_e32 v34, 31, v33
	s_delay_alu instid0(VALU_DEP_1) | instskip(NEXT) | instid1(VALU_DEP_1)
	v_lshlrev_b64_e32 v[34:35], 3, v[33:34]
	v_add_co_u32 v33, vcc_lo, s12, v34
	scratch_store_b64 off, v[34:35], off offset:376 ; 8-byte Folded Spill
	s_wait_alu 0xfffd
	v_add_co_ci_u32_e64 v34, null, s13, v35, vcc_lo
	global_load_b64 v[33:34], v[33:34], off
	s_wait_loadcnt 0x0
	v_add_f64_e64 v[26:27], v[33:34], -v[26:27]
	s_delay_alu instid0(VALU_DEP_1) | instskip(NEXT) | instid1(VALU_DEP_1)
	v_fma_f64 v[26:27], v[29:30], v[26:27], v[31:32]
	v_mul_f64_e32 v[26:27], s[2:3], v[26:27]
	s_add_co_i32 s2, s22, s29
	s_lshl_b32 s3, s30, 1
	s_wait_alu 0xfffe
	v_add3_u32 v189, s40, s2, v79
	s_sub_co_i32 s3, s31, s3
	s_lshl_b32 s2, s31, 1
	s_wait_alu 0xfffe
	s_add_co_i32 s3, s3, 1
	s_wait_alu 0xfffe
	v_mad_co_u64_u32 v[187:188], null, s39, s3, v[189:190]
	s_mul_i32 s3, s30, 3
	s_wait_alu 0xfffe
	s_sub_co_i32 s2, s2, s3
	s_lshl_b32 s3, s30, 2
	s_wait_alu 0xfffe
	s_add_co_i32 s2, s2, 2
	s_wait_alu 0xfffe
	v_mad_co_u64_u32 v[184:185], null, s2, s39, v[189:190]
	s_mul_i32 s2, s31, 3
	s_wait_alu 0xfffe
	s_sub_co_i32 s2, s2, s3
	s_mul_i32 s3, s30, s39
	s_wait_alu 0xfffe
	s_add_co_i32 s2, s2, 3
	v_fma_f64 v[160:161], v[52:53], v[26:27], v[24:25]
	v_subrev_nc_u32_e32 v24, s28, v187
	s_delay_alu instid0(VALU_DEP_1) | instskip(NEXT) | instid1(VALU_DEP_1)
	v_mul_lo_u32 v24, s34, v24
	v_add3_u32 v186, v24, s34, v92
	v_subrev_nc_u32_e32 v24, s28, v184
	s_delay_alu instid0(VALU_DEP_1) | instskip(NEXT) | instid1(VALU_DEP_1)
	v_mul_lo_u32 v24, s34, v24
	v_add3_u32 v191, v24, s34, v92
	s_wait_alu 0xfffe
	v_mad_co_u64_u32 v[24:25], null, s2, s39, v[189:190]
	s_delay_alu instid0(VALU_DEP_1) | instskip(NEXT) | instid1(VALU_DEP_1)
	v_subrev_nc_u32_e32 v24, s28, v24
	v_mul_lo_u32 v24, s34, v24
	s_delay_alu instid0(VALU_DEP_1) | instskip(SKIP_1) | instid1(VALU_DEP_1)
	v_add3_u32 v55, v24, s34, v92
	v_subrev_nc_u32_e32 v24, s3, v189
	v_subrev_nc_u32_e32 v24, s28, v24
	s_delay_alu instid0(VALU_DEP_1) | instskip(NEXT) | instid1(VALU_DEP_1)
	v_mul_lo_u32 v24, s34, v24
	v_add3_u32 v94, v24, s34, v92
.LBB0_2:                                ; =>This Loop Header: Depth=1
                                        ;     Child Loop BB0_3 Depth 2
	v_mov_b32_e32 v33, 0
	v_dual_mov_b32 v24, 0 :: v_dual_add_nc_u32 v39, s33, v55
	v_dual_mov_b32 v29, 0 :: v_dual_add_nc_u32 v40, s33, v191
	v_dual_mov_b32 v34, 0 :: v_dual_mov_b32 v31, 0
	v_dual_mov_b32 v26, 0 :: v_dual_mov_b32 v35, 0
	v_dual_mov_b32 v25, 0 :: v_dual_add_nc_u32 v38, s33, v94
	v_dual_mov_b32 v30, 0 :: v_dual_add_nc_u32 v41, s33, v186
	v_dual_mov_b32 v32, 0 :: v_dual_mov_b32 v27, 0
	v_mov_b32_e32 v36, 0
	s_mov_b32 s22, 0
.LBB0_3:                                ;   Parent Loop BB0_2 Depth=1
                                        ; =>  This Inner Loop Header: Depth=2
	s_wait_alu 0xfffe
	v_add_nc_u32_e32 v42, s22, v37
	v_add_nc_u32_e32 v44, s43, v38
	;; [unrolled: 1-line block ×5, first 2 shown]
	v_ashrrev_i32_e32 v43, 31, v42
	v_ashrrev_i32_e32 v45, 31, v44
	;; [unrolled: 1-line block ×5, first 2 shown]
	v_lshlrev_b64_e32 v[42:43], 3, v[42:43]
	v_lshlrev_b64_e32 v[44:45], 3, v[44:45]
	;; [unrolled: 1-line block ×5, first 2 shown]
	v_add_nc_u32_e32 v41, s21, v41
	v_add_co_u32 v42, vcc_lo, s8, v42
	v_add_co_u32 v58, s2, s14, v44
	s_wait_alu 0xfffd
	v_add_co_ci_u32_e64 v43, null, s9, v43, vcc_lo
	v_add_co_u32 v44, vcc_lo, s16, v44
	s_wait_alu 0xf1ff
	v_add_co_ci_u32_e64 v59, null, s15, v45, s2
	s_wait_alu 0xfffd
	v_add_co_ci_u32_e64 v45, null, s17, v45, vcc_lo
	v_add_co_u32 v49, vcc_lo, s18, v49
	s_wait_alu 0xfffd
	v_add_co_ci_u32_e64 v50, null, s19, v50, vcc_lo
	v_add_co_u32 v56, vcc_lo, s18, v56
	s_wait_alu 0xfffd
	v_add_co_ci_u32_e64 v57, null, s19, v57, vcc_lo
	v_add_co_u32 v60, vcc_lo, s18, v60
	s_wait_alu 0xfffd
	v_add_co_ci_u32_e64 v61, null, s19, v61, vcc_lo
	global_load_b64 v[49:50], v[49:50], off
	global_load_b64 v[58:59], v[58:59], off
	;; [unrolled: 1-line block ×3, first 2 shown]
	s_clause 0x1
	global_load_b64 v[56:57], v[56:57], off
	global_load_b64 v[60:61], v[60:61], off
	;; [unrolled: 1-line block ×3, first 2 shown]
	v_add_nc_u32_e32 v40, s21, v40
	v_add_nc_u32_e32 v39, s21, v39
	v_add_nc_u32_e32 v38, s21, v38
	s_add_co_i32 s22, s22, 48
	s_wait_alu 0xfffe
	s_cmp_eq_u32 s22, 0x180
	s_wait_loadcnt 0x5
	v_mul_f64_e32 v[82:83], v[0:1], v[49:50]
	s_wait_loadcnt 0x3
	v_fma_f64 v[84:85], v[58:59], 2.0, v[44:45]
	v_add_f64_e32 v[44:45], v[58:59], v[44:45]
	s_wait_loadcnt 0x1
	v_mul_f64_e32 v[95:96], v[60:61], v[60:61]
	s_delay_alu instid0(VALU_DEP_4) | instskip(NEXT) | instid1(VALU_DEP_4)
	v_mul_f64_e32 v[82:83], v[49:50], v[82:83]
	v_mul_f64_e32 v[86:87], v[84:85], v[56:57]
	s_wait_loadcnt 0x0
	s_delay_alu instid0(VALU_DEP_4) | instskip(NEXT) | instid1(VALU_DEP_3)
	v_mul_f64_e32 v[44:45], v[42:43], v[44:45]
	v_fma_f64 v[95:96], v[0:1], v[82:83], v[95:96]
	s_delay_alu instid0(VALU_DEP_3) | instskip(NEXT) | instid1(VALU_DEP_2)
	v_mul_f64_e32 v[86:87], v[4:5], v[86:87]
	v_mul_f64_e32 v[95:96], v[58:59], v[95:96]
	s_delay_alu instid0(VALU_DEP_2) | instskip(NEXT) | instid1(VALU_DEP_1)
	v_mul_f64_e32 v[86:87], v[56:57], v[86:87]
	v_fma_f64 v[86:87], v[4:5], v[86:87], v[95:96]
	v_mul_f64_e32 v[95:96], v[4:5], v[56:57]
	s_delay_alu instid0(VALU_DEP_2) | instskip(NEXT) | instid1(VALU_DEP_2)
	v_fma_f64 v[29:30], v[42:43], v[86:87], v[29:30]
	v_mul_f64_e32 v[95:96], v[56:57], v[95:96]
	s_delay_alu instid0(VALU_DEP_1) | instskip(NEXT) | instid1(VALU_DEP_1)
	v_mul_f64_e32 v[95:96], v[4:5], v[95:96]
	v_fma_f64 v[82:83], v[0:1], v[82:83], v[95:96]
	v_fma_f64 v[95:96], v[60:61], v[60:61], v[95:96]
	s_delay_alu instid0(VALU_DEP_1) | instskip(NEXT) | instid1(VALU_DEP_3)
	v_mul_f64_e32 v[95:96], v[58:59], v[95:96]
	v_mul_f64_e32 v[58:59], v[58:59], v[82:83]
	;; [unrolled: 1-line block ×4, first 2 shown]
	s_delay_alu instid0(VALU_DEP_2) | instskip(NEXT) | instid1(VALU_DEP_2)
	v_mul_f64_e32 v[82:83], v[0:1], v[82:83]
	v_fma_f64 v[58:59], v[60:61], v[84:85], v[58:59]
	s_delay_alu instid0(VALU_DEP_2) | instskip(SKIP_2) | instid1(VALU_DEP_4)
	v_mul_f64_e32 v[82:83], v[49:50], v[82:83]
	v_mul_f64_e32 v[49:50], v[49:50], v[44:45]
	;; [unrolled: 1-line block ×3, first 2 shown]
	v_fma_f64 v[24:25], v[42:43], v[58:59], v[24:25]
	s_delay_alu instid0(VALU_DEP_4) | instskip(NEXT) | instid1(VALU_DEP_4)
	v_fma_f64 v[82:83], v[0:1], v[82:83], v[95:96]
	v_fma_f64 v[26:27], v[56:57], v[49:50], v[26:27]
	;; [unrolled: 1-line block ×4, first 2 shown]
	s_delay_alu instid0(VALU_DEP_4)
	v_fma_f64 v[35:36], v[42:43], v[82:83], v[35:36]
	s_cbranch_scc0 .LBB0_3
; %bb.4:                                ;   in Loop: Header=BB0_2 Depth=1
	v_mad_co_u64_u32 v[38:39], null, s35, s21, v[28:29]
	v_mul_f64_e32 v[29:30], v[62:63], v[29:30]
	s_delay_alu instid0(VALU_DEP_4) | instskip(NEXT) | instid1(VALU_DEP_4)
	v_mul_f64_e32 v[33:34], v[52:53], v[33:34]
	v_mul_f64_e32 v[35:36], v[62:63], v[35:36]
	;; [unrolled: 1-line block ×4, first 2 shown]
	v_add_nc_u32_e32 v37, 6, v37
	v_add_nc_u32_e32 v39, s4, v38
	s_add_co_i32 s35, s35, 1
	s_wait_alu 0xfffe
	s_cmp_eq_u32 s35, 9
	s_delay_alu instid0(VALU_DEP_1) | instskip(SKIP_1) | instid1(VALU_DEP_2)
	v_ashrrev_i32_e32 v40, 31, v39
	v_add_nc_u32_e32 v42, s4, v39
	v_lshlrev_b64_e32 v[40:41], 3, v[39:40]
	s_delay_alu instid0(VALU_DEP_2) | instskip(SKIP_1) | instid1(VALU_DEP_2)
	v_ashrrev_i32_e32 v43, 31, v42
	v_ashrrev_i32_e32 v39, 31, v38
	v_lshlrev_b64_e32 v[42:43], 3, v[42:43]
	s_delay_alu instid0(VALU_DEP_4) | instskip(SKIP_3) | instid1(VALU_DEP_4)
	v_add_co_u32 v40, vcc_lo, s12, v40
	s_wait_alu 0xfffd
	v_add_co_ci_u32_e64 v41, null, s13, v41, vcc_lo
	v_lshlrev_b64_e32 v[38:39], 3, v[38:39]
	v_add_co_u32 v42, vcc_lo, s12, v42
	global_load_b64 v[40:41], v[40:41], off
	s_wait_alu 0xfffd
	v_add_co_ci_u32_e64 v43, null, s13, v43, vcc_lo
	v_add_co_u32 v38, vcc_lo, s12, v38
	s_wait_alu 0xfffd
	v_add_co_ci_u32_e64 v39, null, s13, v39, vcc_lo
	s_clause 0x1
	global_load_b64 v[42:43], v[42:43], off
	global_load_b64 v[38:39], v[38:39], off
	s_wait_loadcnt 0x2
	v_mul_f64_e32 v[44:45], v[26:27], v[40:41]
	v_mul_f64_e32 v[29:30], v[29:30], v[40:41]
	;; [unrolled: 1-line block ×3, first 2 shown]
	s_wait_loadcnt 0x0
	s_delay_alu instid0(VALU_DEP_3) | instskip(NEXT) | instid1(VALU_DEP_3)
	v_fma_f64 v[35:36], v[35:36], v[38:39], v[44:45]
	v_fma_f64 v[26:27], v[26:27], v[38:39], v[29:30]
	s_delay_alu instid0(VALU_DEP_3) | instskip(NEXT) | instid1(VALU_DEP_3)
	v_fma_f64 v[29:30], v[31:32], v[38:39], v[40:41]
	v_fma_f64 v[31:32], v[31:32], v[42:43], v[35:36]
	;; [unrolled: 3-line block ×3, first 2 shown]
	s_delay_alu instid0(VALU_DEP_3) | instskip(NEXT) | instid1(VALU_DEP_3)
	v_add_f64_e32 v[64:65], v[64:65], v[31:32]
	v_add_f64_e32 v[8:9], v[8:9], v[26:27]
	s_delay_alu instid0(VALU_DEP_3)
	v_add_f64_e32 v[160:161], v[160:161], v[24:25]
	s_cbranch_scc0 .LBB0_2
; %bb.5:
	v_add_nc_u32_e32 v24, s21, v28
	v_ashrrev_i32_e32 v49, 31, v48
	v_add3_u32 v28, s37, s21, v90
	s_clause 0x2
	scratch_store_b64 off, v[8:9], off offset:616
	scratch_store_b64 off, v[52:53], off offset:536
	;; [unrolled: 1-line block ×3, first 2 shown]
	v_add_nc_u32_e32 v93, s36, v70
	v_ashrrev_i32_e32 v25, 31, v24
	v_lshlrev_b64_e32 v[26:27], 3, v[48:49]
	v_ashrrev_i32_e32 v29, 31, v28
	v_add_nc_u32_e32 v32, s4, v28
	v_add_nc_u32_e32 v108, v69, v93
	v_lshlrev_b64_e32 v[30:31], 3, v[24:25]
	v_dual_mov_b32 v162, 0 :: v_dual_add_nc_u32 v95, s36, v71
	v_add_co_u32 v24, vcc_lo, s24, v26
	s_wait_alu 0xfffd
	v_add_co_ci_u32_e64 v25, null, s25, v27, vcc_lo
	s_delay_alu instid0(VALU_DEP_4)
	v_add_co_u32 v26, vcc_lo, s14, v30
	s_wait_alu 0xfffd
	v_add_co_ci_u32_e64 v27, null, s15, v31, vcc_lo
	v_lshlrev_b64_e32 v[34:35], 3, v[28:29]
	v_add_co_u32 v28, vcc_lo, s16, v30
	s_wait_alu 0xfffd
	v_add_co_ci_u32_e64 v29, null, s17, v31, vcc_lo
	global_load_b64 v[8:9], v[24:25], off offset:-8
	v_dual_mov_b32 v150, 0 :: v_dual_add_nc_u32 v49, s37, v108
	global_load_b64 v[24:25], v[28:29], off
	v_dual_mov_b32 v151, 0 :: v_dual_add_nc_u32 v36, s4, v32
	v_dual_mov_b32 v154, 0 :: v_dual_add_nc_u32 v113, v68, v95
	v_mov_b32_e32 v155, 0
	v_add_co_u32 v30, vcc_lo, s18, v34
	s_delay_alu instid0(VALU_DEP_4)
	v_ashrrev_i32_e32 v37, 31, v36
	v_add_nc_u32_e32 v86, s36, v78
	s_wait_alu 0xfffd
	v_add_co_ci_u32_e64 v31, null, s19, v35, vcc_lo
	v_ashrrev_i32_e32 v33, 31, v32
	v_lshlrev_b64_e32 v[34:35], 3, v[36:37]
	v_add_nc_u32_e32 v36, s4, v90
	v_dual_mov_b32 v164, 0 :: v_dual_add_nc_u32 v119, v73, v86
	v_mov_b32_e32 v165, 0
	v_lshlrev_b64_e32 v[32:33], 3, v[32:33]
	s_delay_alu instid0(VALU_DEP_4)
	v_ashrrev_i32_e32 v37, 31, v36
	v_add_nc_u32_e32 v38, s4, v36
	global_load_b64 v[10:11], v[30:31], off
	v_dual_mov_b32 v163, 0 :: v_dual_add_nc_u32 v96, s36, v47
	v_lshlrev_b64_e32 v[36:37], 3, v[36:37]
	v_add_co_u32 v32, vcc_lo, s18, v32
	s_wait_alu 0xfffd
	v_add_co_ci_u32_e64 v33, null, s19, v33, vcc_lo
	v_add_co_u32 v34, vcc_lo, s18, v34
	s_wait_alu 0xfffd
	v_add_co_ci_u32_e64 v35, null, s19, v35, vcc_lo
	;; [unrolled: 3-line block ×3, first 2 shown]
	v_ashrrev_i32_e32 v39, 31, v38
	v_add_nc_u32_e32 v40, s4, v38
	v_add_nc_u32_e32 v97, v69, v86
	;; [unrolled: 1-line block ×4, first 2 shown]
	v_lshlrev_b64_e32 v[38:39], 3, v[38:39]
	v_ashrrev_i32_e32 v41, 31, v40
	v_add_nc_u32_e32 v130, v72, v95
	v_add_nc_u32_e32 v42, s37, v97
	v_mov_b32_e32 v166, 0
	v_mov_b32_e32 v167, 0
	v_add_co_u32 v38, vcc_lo, s12, v38
	s_wait_alu 0xfffd
	v_add_co_ci_u32_e64 v39, null, s13, v39, vcc_lo
	v_lshlrev_b64_e32 v[40:41], 3, v[40:41]
	v_add_nc_u32_e32 v44, s37, v104
	v_add_nc_u32_e32 v110, v68, v86
	;; [unrolled: 1-line block ×4, first 2 shown]
	v_dual_mov_b32 v152, 0 :: v_dual_add_nc_u32 v95, s37, v130
	v_add_co_u32 v40, vcc_lo, s12, v40
	s_wait_alu 0xfffd
	v_add_co_ci_u32_e64 v41, null, s13, v41, vcc_lo
	v_dual_mov_b32 v153, 0 :: v_dual_add_nc_u32 v112, v68, v96
	v_ashrrev_i32_e32 v43, 31, v42
	v_ashrrev_i32_e32 v45, 31, v44
	v_add_nc_u32_e32 v56, s37, v110
	v_ashrrev_i32_e32 v47, 31, v46
	v_add_nc_u32_e32 v118, v68, v93
	v_lshlrev_b64_e32 v[42:43], 3, v[42:43]
	v_add_nc_u32_e32 v58, s37, v112
	v_ashrrev_i32_e32 v50, 31, v49
	v_lshlrev_b64_e32 v[44:45], 3, v[44:45]
	v_add_nc_u32_e32 v60, s37, v113
	v_ashrrev_i32_e32 v57, 31, v56
	v_add_nc_u32_e32 v124, v73, v96
	v_lshlrev_b64_e32 v[46:47], 3, v[46:47]
	v_add_nc_u32_e32 v68, s37, v118
	v_ashrrev_i32_e32 v59, 31, v58
	v_add_co_u32 v42, vcc_lo, s12, v42
	v_lshlrev_b64_e32 v[49:50], 3, v[49:50]
	v_add_nc_u32_e32 v70, s37, v119
	v_ashrrev_i32_e32 v61, 31, v60
	s_wait_alu 0xfffd
	v_add_co_ci_u32_e64 v43, null, s13, v43, vcc_lo
	v_add_co_u32 v44, vcc_lo, s12, v44
	v_lshlrev_b64_e32 v[56:57], 3, v[56:57]
	v_add_nc_u32_e32 v78, s37, v124
	v_ashrrev_i32_e32 v69, 31, v68
	s_wait_alu 0xfffd
	v_add_co_ci_u32_e64 v45, null, s13, v45, vcc_lo
	v_add_co_u32 v46, vcc_lo, s12, v46
	v_lshlrev_b64_e32 v[58:59], 3, v[58:59]
	v_ashrrev_i32_e32 v71, 31, v70
	s_wait_alu 0xfffd
	v_add_co_ci_u32_e64 v47, null, s13, v47, vcc_lo
	v_add_co_u32 v49, vcc_lo, s12, v49
	v_lshlrev_b64_e32 v[60:61], 3, v[60:61]
	;; [unrolled: 5-line block ×3, first 2 shown]
	s_wait_alu 0xfffd
	v_add_co_ci_u32_e64 v57, null, s13, v57, vcc_lo
	v_add_co_u32 v58, vcc_lo, s12, v58
	v_lshlrev_b64_e32 v[70:71], 3, v[70:71]
	s_wait_alu 0xfffd
	v_add_co_ci_u32_e64 v59, null, s13, v59, vcc_lo
	v_add_co_u32 v60, vcc_lo, s12, v60
	v_lshlrev_b64_e32 v[78:79], 3, v[78:79]
	s_wait_alu 0xfffd
	v_add_co_ci_u32_e64 v61, null, s13, v61, vcc_lo
	v_add_co_u32 v68, vcc_lo, s12, v68
	s_wait_alu 0xfffd
	v_add_co_ci_u32_e64 v69, null, s13, v69, vcc_lo
	v_add_co_u32 v70, vcc_lo, s12, v70
	;; [unrolled: 3-line block ×3, first 2 shown]
	s_wait_alu 0xfffd
	v_add_co_ci_u32_e64 v79, null, s13, v79, vcc_lo
	v_add_nc_u32_e32 v128, v72, v86
	v_add_nc_u32_e32 v82, s37, v126
	;; [unrolled: 1-line block ×3, first 2 shown]
	v_ashrrev_i32_e32 v96, 31, v95
	s_mov_b32 s2, -1
	v_add_nc_u32_e32 v86, s37, v128
	v_ashrrev_i32_e32 v83, 31, v82
	v_add_nc_u32_e32 v98, s37, v129
	v_lshlrev_b64_e32 v[95:96], 3, v[95:96]
	s_mov_b32 s8, s21
	v_ashrrev_i32_e32 v87, 31, v86
	v_lshlrev_b64_e32 v[82:83], 3, v[82:83]
	v_ashrrev_i32_e32 v99, 31, v98
	s_delay_alu instid0(VALU_DEP_3) | instskip(NEXT) | instid1(VALU_DEP_3)
	v_lshlrev_b64_e32 v[86:87], 3, v[86:87]
	v_add_co_u32 v82, vcc_lo, s12, v82
	s_delay_alu instid0(VALU_DEP_3)
	v_lshlrev_b64_e32 v[98:99], 3, v[98:99]
	s_wait_alu 0xfffd
	v_add_co_ci_u32_e64 v83, null, s13, v83, vcc_lo
	s_wait_loadcnt 0x1
	scratch_store_b64 off, v[24:25], off offset:416 ; 8-byte Folded Spill
	global_load_b64 v[24:25], v[36:37], off
	s_wait_loadcnt 0x0
	scratch_store_b64 off, v[24:25], off offset:400 ; 8-byte Folded Spill
	global_load_b64 v[24:25], v[38:39], off
	;; [unrolled: 3-line block ×3, first 2 shown]
	scratch_store_b64 off, v[8:9], off offset:440 ; 8-byte Folded Spill
	global_load_b64 v[8:9], v[26:27], off
	s_wait_loadcnt 0x1
	scratch_store_b64 off, v[24:25], off offset:392 ; 8-byte Folded Spill
	s_wait_loadcnt 0x0
	scratch_store_b64 off, v[8:9], off offset:456 ; 8-byte Folded Spill
	global_load_b64 v[8:9], v[32:33], off
	scratch_store_b64 off, v[10:11], off offset:448 ; 8-byte Folded Spill
	global_load_b64 v[10:11], v[34:35], off
	s_wait_loadcnt 0x1
	scratch_store_b64 off, v[8:9], off offset:480 ; 8-byte Folded Spill
	s_wait_loadcnt 0x0
	scratch_store_b64 off, v[10:11], off offset:464 ; 8-byte Folded Spill
	s_clause 0x9
	global_load_b64 v[180:181], v[42:43], off
	global_load_b64 v[144:145], v[44:45], off
	global_load_b64 v[66:67], v[46:47], off
	global_load_b64 v[10:11], v[49:50], off
	global_load_b64 v[134:135], v[56:57], off
	global_load_b64 v[136:137], v[58:59], off
	global_load_b64 v[138:139], v[60:61], off
	global_load_b64 v[168:169], v[68:69], off
	global_load_b64 v[51:52], v[70:71], off
	global_load_b64 v[8:9], v[78:79], off
	v_dual_mov_b32 v56, 0 :: v_dual_add_nc_u32 v127, v73, v93
	v_add_nc_u32_e32 v93, v72, v93
	s_delay_alu instid0(VALU_DEP_2) | instskip(NEXT) | instid1(VALU_DEP_2)
	v_dual_mov_b32 v57, 0 :: v_dual_add_nc_u32 v84, s37, v127
	v_add_nc_u32_e32 v72, s37, v93
	s_delay_alu instid0(VALU_DEP_2) | instskip(NEXT) | instid1(VALU_DEP_2)
	v_ashrrev_i32_e32 v85, 31, v84
	v_ashrrev_i32_e32 v73, 31, v72
	s_delay_alu instid0(VALU_DEP_2) | instskip(NEXT) | instid1(VALU_DEP_2)
	v_lshlrev_b64_e32 v[84:85], 3, v[84:85]
	v_lshlrev_b64_e32 v[72:73], 3, v[72:73]
	s_delay_alu instid0(VALU_DEP_2) | instskip(SKIP_1) | instid1(VALU_DEP_3)
	v_add_co_u32 v84, vcc_lo, s12, v84
	s_wait_alu 0xfffd
	v_add_co_ci_u32_e64 v85, null, s13, v85, vcc_lo
	v_add_co_u32 v86, vcc_lo, s12, v86
	s_wait_alu 0xfffd
	v_add_co_ci_u32_e64 v87, null, s13, v87, vcc_lo
	;; [unrolled: 3-line block ×4, first 2 shown]
	v_add_co_u32 v100, vcc_lo, s12, v72
	v_add_nc_u32_e32 v72, s4, v97
	s_wait_alu 0xfffd
	v_add_co_ci_u32_e64 v101, null, s13, v73, vcc_lo
	s_delay_alu instid0(VALU_DEP_2) | instskip(NEXT) | instid1(VALU_DEP_1)
	v_ashrrev_i32_e32 v73, 31, v72
	v_lshlrev_b64_e32 v[72:73], 3, v[72:73]
	s_delay_alu instid0(VALU_DEP_1) | instskip(SKIP_1) | instid1(VALU_DEP_2)
	v_add_co_u32 v102, vcc_lo, s12, v72
	s_wait_alu 0xfffd
	v_add_co_ci_u32_e64 v103, null, s13, v73, vcc_lo
	v_add_nc_u32_e32 v72, s4, v104
	s_delay_alu instid0(VALU_DEP_1) | instskip(NEXT) | instid1(VALU_DEP_1)
	v_ashrrev_i32_e32 v73, 31, v72
	v_lshlrev_b64_e32 v[72:73], 3, v[72:73]
	s_delay_alu instid0(VALU_DEP_1) | instskip(SKIP_1) | instid1(VALU_DEP_2)
	v_add_co_u32 v104, vcc_lo, s12, v72
	s_wait_alu 0xfffd
	v_add_co_ci_u32_e64 v105, null, s13, v73, vcc_lo
	v_add_nc_u32_e32 v72, s4, v106
	s_delay_alu instid0(VALU_DEP_1) | instskip(NEXT) | instid1(VALU_DEP_1)
	v_ashrrev_i32_e32 v73, 31, v72
	v_lshlrev_b64_e32 v[72:73], 3, v[72:73]
	s_delay_alu instid0(VALU_DEP_1) | instskip(SKIP_2) | instid1(VALU_DEP_3)
	v_add_co_u32 v106, vcc_lo, s12, v72
	v_add_nc_u32_e32 v72, s4, v108
	s_wait_alu 0xfffd
	v_add_co_ci_u32_e64 v107, null, s13, v73, vcc_lo
	s_delay_alu instid0(VALU_DEP_2) | instskip(NEXT) | instid1(VALU_DEP_1)
	v_ashrrev_i32_e32 v73, 31, v72
	v_lshlrev_b64_e32 v[72:73], 3, v[72:73]
	s_delay_alu instid0(VALU_DEP_1) | instskip(SKIP_2) | instid1(VALU_DEP_3)
	v_add_co_u32 v108, vcc_lo, s12, v72
	v_add_nc_u32_e32 v72, s4, v110
	s_wait_alu 0xfffd
	v_add_co_ci_u32_e64 v109, null, s13, v73, vcc_lo
	s_delay_alu instid0(VALU_DEP_2) | instskip(NEXT) | instid1(VALU_DEP_1)
	;; [unrolled: 8-line block ×8, first 2 shown]
	v_ashrrev_i32_e32 v73, 31, v72
	v_lshlrev_b64_e32 v[72:73], 3, v[72:73]
	s_delay_alu instid0(VALU_DEP_1) | instskip(SKIP_1) | instid1(VALU_DEP_2)
	v_add_co_u32 v132, vcc_lo, s12, v72
	s_wait_alu 0xfffd
	v_add_co_ci_u32_e64 v133, null, s13, v73, vcc_lo
	s_wait_loadcnt 0x0
	scratch_store_b64 off, v[8:9], off offset:528 ; 8-byte Folded Spill
	s_clause 0x6
	global_load_b64 v[170:171], v[82:83], off
	global_load_b64 v[172:173], v[84:85], off
	global_load_b64 v[74:75], v[86:87], off
	global_load_b64 v[76:77], v[98:99], off
	global_load_b64 v[53:54], v[95:96], off
	global_load_b64 v[176:177], v[100:101], off
	global_load_b64 v[8:9], v[102:103], off
	v_mov_b32_e32 v84, 0
	v_dual_mov_b32 v85, 0 :: v_dual_add_nc_u32 v72, s4, v127
	s_delay_alu instid0(VALU_DEP_1) | instskip(NEXT) | instid1(VALU_DEP_1)
	v_ashrrev_i32_e32 v73, 31, v72
	v_lshlrev_b64_e32 v[72:73], 3, v[72:73]
	s_delay_alu instid0(VALU_DEP_1) | instskip(SKIP_2) | instid1(VALU_DEP_3)
	v_add_co_u32 v80, vcc_lo, s12, v72
	v_add_nc_u32_e32 v72, s4, v128
	s_wait_alu 0xfffd
	v_add_co_ci_u32_e64 v81, null, s13, v73, vcc_lo
	s_delay_alu instid0(VALU_DEP_2) | instskip(NEXT) | instid1(VALU_DEP_1)
	v_ashrrev_i32_e32 v73, 31, v72
	v_lshlrev_b64_e32 v[72:73], 3, v[72:73]
	s_delay_alu instid0(VALU_DEP_1) | instskip(SKIP_2) | instid1(VALU_DEP_3)
	v_add_co_u32 v140, vcc_lo, s12, v72
	v_add_nc_u32_e32 v72, s4, v129
	s_wait_alu 0xfffd
	v_add_co_ci_u32_e64 v141, null, s13, v73, vcc_lo
	s_delay_alu instid0(VALU_DEP_2) | instskip(NEXT) | instid1(VALU_DEP_1)
	v_ashrrev_i32_e32 v73, 31, v72
	v_lshlrev_b64_e32 v[72:73], 3, v[72:73]
	s_delay_alu instid0(VALU_DEP_1) | instskip(SKIP_2) | instid1(VALU_DEP_3)
	v_add_co_u32 v142, vcc_lo, s12, v72
	v_add_nc_u32_e32 v72, s4, v130
	s_wait_alu 0xfffd
	v_add_co_ci_u32_e64 v143, null, s13, v73, vcc_lo
	s_delay_alu instid0(VALU_DEP_2) | instskip(NEXT) | instid1(VALU_DEP_1)
	v_ashrrev_i32_e32 v73, 31, v72
	v_lshlrev_b64_e32 v[72:73], 3, v[72:73]
	s_delay_alu instid0(VALU_DEP_1) | instskip(SKIP_2) | instid1(VALU_DEP_3)
	v_add_co_u32 v146, vcc_lo, s12, v72
	v_add_nc_u32_e32 v72, s4, v93
	s_wait_alu 0xfffd
	v_add_co_ci_u32_e64 v147, null, s13, v73, vcc_lo
	s_delay_alu instid0(VALU_DEP_2) | instskip(NEXT) | instid1(VALU_DEP_1)
	v_ashrrev_i32_e32 v73, 31, v72
	v_lshlrev_b64_e32 v[72:73], 3, v[72:73]
	s_delay_alu instid0(VALU_DEP_1) | instskip(SKIP_1) | instid1(VALU_DEP_2)
	v_add_co_u32 v148, vcc_lo, s12, v72
	s_wait_alu 0xfffd
	v_add_co_ci_u32_e64 v149, null, s13, v73, vcc_lo
	s_wait_loadcnt 0x0
	scratch_store_b64 off, v[8:9], off offset:504 ; 8-byte Folded Spill
	global_load_b64 v[8:9], v[104:105], off
	s_wait_loadcnt 0x0
	scratch_store_b64 off, v[8:9], off offset:520 ; 8-byte Folded Spill
	s_clause 0x2
	global_load_b64 v[20:21], v[106:107], off
	global_load_b64 v[130:131], v[108:109], off
	;; [unrolled: 1-line block ×3, first 2 shown]
	v_mov_b32_e32 v108, 0
	v_mov_b32_e32 v109, 0
	s_wait_loadcnt 0x0
	scratch_store_b64 off, v[8:9], off offset:544 ; 8-byte Folded Spill
	s_clause 0x1
	global_load_b64 v[62:63], v[114:115], off
	global_load_b64 v[8:9], v[116:117], off
	v_mov_b32_e32 v114, 0
	v_mov_b32_e32 v115, 0
	s_wait_loadcnt 0x0
	scratch_store_b64 off, v[8:9], off offset:568 ; 8-byte Folded Spill
	s_clause 0x1
	global_load_b64 v[174:175], v[120:121], off
	global_load_b64 v[8:9], v[122:123], off
	s_wait_loadcnt 0x0
	scratch_store_b64 off, v[8:9], off offset:584 ; 8-byte Folded Spill
	global_load_b64 v[8:9], v[124:125], off
	s_wait_loadcnt 0x0
	scratch_store_b64 off, v[8:9], off offset:592 ; 8-byte Folded Spill
	s_clause 0x3
	global_load_b64 v[72:73], v[132:133], off
	global_load_b64 v[120:121], v[80:81], off
	;; [unrolled: 1-line block ×4, first 2 shown]
	v_mov_b32_e32 v146, 0
	v_mov_b32_e32 v147, 0
	s_wait_loadcnt 0x1
	scratch_store_b64 off, v[8:9], off offset:600 ; 8-byte Folded Spill
	global_load_b64 v[8:9], v[142:143], off
	s_wait_loadcnt 0x1
	scratch_store_b64 off, v[24:25], off offset:496 ; 8-byte Folded Spill
	s_wait_loadcnt 0x0
	scratch_store_b64 off, v[8:9], off offset:608 ; 8-byte Folded Spill
	global_load_b64 v[8:9], v[148:149], off
	v_mov_b32_e32 v148, 0
	v_mov_b32_e32 v149, 0
	s_wait_loadcnt 0x0
	scratch_store_b64 off, v[8:9], off offset:624 ; 8-byte Folded Spill
.LBB0_6:                                ; =>This Inner Loop Header: Depth=1
	v_ashrrev_i32_e32 v25, 31, v90
	s_wait_alu 0xfffe
	v_add_nc_u32_e32 v24, s2, v48
	s_ashr_i32 s9, s8, 31
	v_add_co_u32 v34, vcc_lo, s8, v90
	s_wait_alu 0xfffc
	v_add_co_ci_u32_e64 v35, null, s9, v25, vcc_lo
	v_ashrrev_i32_e32 v25, 31, v24
	s_delay_alu instid0(VALU_DEP_3) | instskip(SKIP_1) | instid1(VALU_DEP_3)
	v_add_co_u32 v26, vcc_lo, v34, s4
	s_wait_alu 0xfffd
	v_add_co_ci_u32_e64 v27, null, s5, v35, vcc_lo
	s_delay_alu instid0(VALU_DEP_3) | instskip(SKIP_2) | instid1(VALU_DEP_2)
	v_lshlrev_b64_e32 v[24:25], 3, v[24:25]
	s_add_co_i32 s2, s2, 6
	s_add_co_i32 s8, s8, s21
	v_lshlrev_b64_e32 v[26:27], 3, v[26:27]
	s_wait_alu 0xfffe
	s_cmp_eq_u32 s2, 47
	v_add_co_u32 v24, vcc_lo, s10, v24
	s_wait_alu 0xfffd
	v_add_co_ci_u32_e64 v25, null, s11, v25, vcc_lo
	v_add_co_u32 v28, vcc_lo, s12, v26
	s_wait_alu 0xfffd
	v_add_co_ci_u32_e64 v29, null, s13, v27, vcc_lo
	global_load_b64 v[30:31], v[24:25], off
	global_load_b128 v[24:27], v[28:29], off offset:-16
	s_wait_loadcnt 0x0
	v_fma_f64 v[114:115], v[30:31], v[24:25], v[114:115]
	v_add_co_u32 v24, vcc_lo, v34, s37
	s_wait_alu 0xfffd
	v_add_co_ci_u32_e64 v25, null, s38, v35, vcc_lo
	v_fma_f64 v[148:149], v[30:31], v[26:27], v[148:149]
	s_delay_alu instid0(VALU_DEP_2) | instskip(NEXT) | instid1(VALU_DEP_1)
	v_lshlrev_b64_e32 v[24:25], 3, v[24:25]
	v_add_co_u32 v32, vcc_lo, s12, v24
	s_wait_alu 0xfffd
	s_delay_alu instid0(VALU_DEP_2)
	v_add_co_ci_u32_e64 v33, null, s13, v25, vcc_lo
	global_load_b128 v[24:27], v[32:33], off offset:-16
	s_wait_loadcnt 0x0
	v_fma_f64 v[108:109], v[30:31], v[24:25], v[108:109]
	v_add_co_u32 v24, vcc_lo, v34, s41
	s_wait_alu 0xfffd
	v_add_co_ci_u32_e64 v25, null, s42, v35, vcc_lo
	v_fma_f64 v[84:85], v[30:31], v[26:27], v[84:85]
	s_delay_alu instid0(VALU_DEP_2) | instskip(NEXT) | instid1(VALU_DEP_1)
	v_lshlrev_b64_e32 v[24:25], 3, v[24:25]
	v_add_co_u32 v34, vcc_lo, s12, v24
	s_wait_alu 0xfffd
	s_delay_alu instid0(VALU_DEP_2)
	v_add_co_ci_u32_e64 v35, null, s13, v25, vcc_lo
	global_load_b128 v[24:27], v[34:35], off offset:-16
	s_wait_loadcnt 0x0
	v_fma_f64 v[150:151], v[30:31], v[24:25], v[150:151]
	v_fma_f64 v[146:147], v[30:31], v[26:27], v[146:147]
	global_load_b128 v[24:27], v[28:29], off offset:8
	s_wait_loadcnt 0x0
	v_fma_f64 v[152:153], v[30:31], v[26:27], v[152:153]
	v_fma_f64 v[166:167], v[30:31], v[24:25], v[166:167]
	global_load_b128 v[24:27], v[32:33], off offset:8
	;; [unrolled: 4-line block ×3, first 2 shown]
	s_wait_loadcnt 0x0
	v_fma_f64 v[56:57], v[30:31], v[26:27], v[56:57]
	v_fma_f64 v[162:163], v[30:31], v[24:25], v[162:163]
	s_cbranch_scc0 .LBB0_6
; %bb.7:
	v_add_co_u32 v36, vcc_lo, s18, v156
	s_lshl_b32 s2, s4, 2
	s_wait_alu 0xfffd
	v_add_co_ci_u32_e64 v37, null, s19, v157, vcc_lo
	v_add_co_u32 v38, vcc_lo, s18, v158
	s_wait_alu 0xfffd
	v_add_co_ci_u32_e64 v39, null, s19, v159, vcc_lo
	s_wait_alu 0xfffe
	s_ashr_i32 s4, s2, 31
	v_add_co_u32 v32, vcc_lo, v89, s2
	s_wait_alu 0xfffc
	v_add_co_ci_u32_e64 v33, null, s4, v91, vcc_lo
	s_clause 0x2
	scratch_store_b64 off, v[156:157], off offset:168
	scratch_store_b64 off, v[64:65], off offset:576
	;; [unrolled: 1-line block ×3, first 2 shown]
	v_lshlrev_b64_e32 v[32:33], 3, v[32:33]
	s_clause 0x1
	global_load_b128 v[24:27], v[36:37], off offset:8
	global_load_b128 v[28:31], v[38:39], off offset:8
	s_lshl_b32 s5, s26, 2
	s_not_b32 s8, s28
	v_mov_b32_e32 v158, 0
	v_add_co_u32 v49, vcc_lo, s18, v32
	s_wait_alu 0xfffd
	v_add_co_ci_u32_e64 v50, null, s19, v33, vcc_lo
	s_clause 0x3
	global_load_b128 v[32:35], v[49:50], off offset:8
	global_load_b128 v[40:43], v[36:37], off offset:-16
	global_load_b128 v[44:47], v[38:39], off offset:-16
	;; [unrolled: 1-line block ×3, first 2 shown]
	v_xad_u32 v49, s3, -1, v189
	s_mul_i32 s3, s27, 3
	v_mov_b32_e32 v86, 0
	s_add_co_i32 s23, s23, s20
	v_mov_b32_e32 v124, 0
	v_subrev_nc_u32_e32 v49, s28, v49
	v_dual_mov_b32 v189, 0 :: v_dual_mov_b32 v110, 0
	v_mov_b32_e32 v116, 0
	v_mov_b32_e32 v190, 0
	s_delay_alu instid0(VALU_DEP_4)
	v_mul_lo_u32 v49, v49, s34
	v_mov_b32_e32 v111, 0
	v_mov_b32_e32 v117, 0
	s_mov_b32 s4, -1
	v_mov_b32_e32 v159, 0
	v_dual_mov_b32 v87, 0 :: v_dual_mov_b32 v102, 0
	v_dual_mov_b32 v103, 0 :: v_dual_add_nc_u32 v50, v92, v49
	v_dual_mov_b32 v125, 0 :: v_dual_mov_b32 v156, 0
	s_wait_alu 0xfffe
	s_delay_alu instid0(VALU_DEP_2) | instskip(NEXT) | instid1(VALU_DEP_1)
	v_dual_mov_b32 v157, 0 :: v_dual_add_nc_u32 v58, s3, v50
	v_subrev_nc_u32_e32 v58, s5, v58
	s_delay_alu instid0(VALU_DEP_1) | instskip(SKIP_3) | instid1(VALU_DEP_4)
	v_add_nc_u32_e32 v95, 3, v58
	v_dual_mov_b32 v187, 0 :: v_dual_add_nc_u32 v58, s8, v187
	v_subrev_nc_u32_e32 v82, s26, v50
	v_mov_b32_e32 v188, 0
	v_mov_b32_e32 v132, v95
	s_delay_alu instid0(VALU_DEP_4) | instskip(NEXT) | instid1(VALU_DEP_1)
	v_mul_lo_u32 v58, v58, s34
	v_add_nc_u32_e32 v59, v92, v58
	s_delay_alu instid0(VALU_DEP_1) | instskip(SKIP_1) | instid1(VALU_DEP_2)
	v_add_nc_u32_e32 v60, s3, v59
	v_subrev_nc_u32_e32 v83, s26, v59
	v_subrev_nc_u32_e32 v60, s5, v60
	s_delay_alu instid0(VALU_DEP_1) | instskip(SKIP_3) | instid1(VALU_DEP_3)
	v_add_nc_u32_e32 v96, 3, v60
	v_add_nc_u32_e32 v60, s8, v184
	v_mov_b32_e32 v184, 0
	v_mov_b32_e32 v185, 0
	v_mul_lo_u32 v60, v60, s34
	s_delay_alu instid0(VALU_DEP_1) | instskip(NEXT) | instid1(VALU_DEP_1)
	v_add_nc_u32_e32 v61, v92, v60
	v_add_nc_u32_e32 v68, s3, v61
	s_lshl_b32 s3, s27, 2
	s_delay_alu instid0(VALU_DEP_1) | instskip(SKIP_1) | instid1(VALU_DEP_1)
	v_subrev_nc_u32_e32 v68, s5, v68
	s_mul_i32 s5, s26, 5
	v_add_nc_u32_e32 v97, 3, v68
	s_wait_alu 0xfffe
	v_add_nc_u32_e32 v68, s3, v50
	v_mov_b32_e32 v50, v83
	s_delay_alu instid0(VALU_DEP_2) | instskip(NEXT) | instid1(VALU_DEP_1)
	v_subrev_nc_u32_e32 v68, s5, v68
	v_add_nc_u32_e32 v98, 4, v68
	s_delay_alu instid0(VALU_DEP_1) | instskip(NEXT) | instid1(VALU_DEP_1)
	v_dual_mov_b32 v107, v98 :: v_dual_add_nc_u32 v68, s3, v59
	v_subrev_nc_u32_e32 v68, s5, v68
	s_delay_alu instid0(VALU_DEP_1) | instskip(SKIP_2) | instid1(VALU_DEP_1)
	v_add_nc_u32_e32 v99, 4, v68
	v_add_nc_u32_e32 v68, s3, v61
	s_lshl_b32 s3, s26, 1
	v_subrev_nc_u32_e32 v68, s5, v68
	s_delay_alu instid0(VALU_DEP_1) | instskip(SKIP_3) | instid1(VALU_DEP_4)
	v_add_nc_u32_e32 v100, 4, v68
	v_add3_u32 v68, s23, s27, v88
	v_mov_b32_e32 v88, v82
	v_subrev_nc_u32_e32 v106, s26, v61
	v_mov_b32_e32 v92, v100
	s_delay_alu instid0(VALU_DEP_4) | instskip(SKIP_3) | instid1(VALU_DEP_3)
	v_add_nc_u32_e32 v49, v68, v49
	v_mov_b32_e32 v93, v99
	v_mov_b32_e32 v123, v96
	s_wait_alu 0xfffe
	v_subrev_nc_u32_e32 v49, s3, v49
	s_delay_alu instid0(VALU_DEP_1) | instskip(SKIP_2) | instid1(VALU_DEP_3)
	v_add_nc_u32_e32 v101, 1, v49
	v_dual_mov_b32 v58, 0 :: v_dual_add_nc_u32 v49, v68, v58
	v_mov_b32_e32 v59, 0
	v_mov_b32_e32 v91, v101
	s_delay_alu instid0(VALU_DEP_3) | instskip(NEXT) | instid1(VALU_DEP_1)
	v_subrev_nc_u32_e32 v49, s3, v49
	v_add_nc_u32_e32 v104, 1, v49
	v_dual_mov_b32 v60, 0 :: v_dual_add_nc_u32 v49, v68, v60
	s_delay_alu instid0(VALU_DEP_2) | instskip(NEXT) | instid1(VALU_DEP_2)
	v_dual_mov_b32 v61, 0 :: v_dual_mov_b32 v90, v104
	v_subrev_nc_u32_e32 v49, s3, v49
	s_delay_alu instid0(VALU_DEP_1) | instskip(SKIP_1) | instid1(VALU_DEP_2)
	v_dual_mov_b32 v122, v97 :: v_dual_add_nc_u32 v105, 1, v49
	v_mov_b32_e32 v49, v106
	v_mov_b32_e32 v89, v105
.LBB0_8:                                ; =>This Inner Loop Header: Depth=1
	v_add_nc_u32_e32 v68, s4, v48
	v_add_nc_u32_e32 v70, s33, v88
	;; [unrolled: 1-line block ×3, first 2 shown]
	s_add_co_i32 s4, s4, 6
	s_wait_alu 0xfffe
	s_cmp_eq_u32 s4, 47
	v_ashrrev_i32_e32 v69, 31, v68
	v_ashrrev_i32_e32 v71, 31, v70
	s_delay_alu instid0(VALU_DEP_2) | instskip(NEXT) | instid1(VALU_DEP_2)
	v_lshlrev_b64_e32 v[68:69], 3, v[68:69]
	v_lshlrev_b64_e32 v[70:71], 3, v[70:71]
	s_delay_alu instid0(VALU_DEP_2) | instskip(SKIP_1) | instid1(VALU_DEP_3)
	v_add_co_u32 v68, vcc_lo, s10, v68
	s_wait_alu 0xfffd
	v_add_co_ci_u32_e64 v69, null, s11, v69, vcc_lo
	s_delay_alu instid0(VALU_DEP_3)
	v_add_co_u32 v70, vcc_lo, s12, v70
	s_wait_alu 0xfffd
	v_add_co_ci_u32_e64 v71, null, s13, v71, vcc_lo
	global_load_b64 v[68:69], v[68:69], off
	global_load_b64 v[70:71], v[70:71], off
	s_wait_loadcnt 0x0
	v_fma_f64 v[116:117], v[68:69], v[70:71], v[116:117]
	v_add_nc_u32_e32 v70, s33, v50
	v_add_nc_u32_e32 v50, s21, v50
	s_delay_alu instid0(VALU_DEP_2) | instskip(NEXT) | instid1(VALU_DEP_1)
	v_ashrrev_i32_e32 v71, 31, v70
	v_lshlrev_b64_e32 v[70:71], 3, v[70:71]
	s_delay_alu instid0(VALU_DEP_1) | instskip(SKIP_1) | instid1(VALU_DEP_2)
	v_add_co_u32 v70, vcc_lo, s12, v70
	s_wait_alu 0xfffd
	v_add_co_ci_u32_e64 v71, null, s13, v71, vcc_lo
	global_load_b64 v[70:71], v[70:71], off
	s_wait_loadcnt 0x0
	v_fma_f64 v[189:190], v[68:69], v[70:71], v[189:190]
	v_add_nc_u32_e32 v70, s33, v49
	v_add_nc_u32_e32 v49, s21, v49
	s_delay_alu instid0(VALU_DEP_2) | instskip(NEXT) | instid1(VALU_DEP_1)
	v_ashrrev_i32_e32 v71, 31, v70
	v_lshlrev_b64_e32 v[70:71], 3, v[70:71]
	s_delay_alu instid0(VALU_DEP_1) | instskip(SKIP_1) | instid1(VALU_DEP_2)
	v_add_co_u32 v70, vcc_lo, s12, v70
	s_wait_alu 0xfffd
	v_add_co_ci_u32_e64 v71, null, s13, v71, vcc_lo
	global_load_b64 v[70:71], v[70:71], off
	s_wait_loadcnt 0x0
	v_fma_f64 v[58:59], v[68:69], v[70:71], v[58:59]
	v_add_nc_u32_e32 v70, s33, v91
	v_add_nc_u32_e32 v91, s21, v91
	s_delay_alu instid0(VALU_DEP_2) | instskip(NEXT) | instid1(VALU_DEP_1)
	v_ashrrev_i32_e32 v71, 31, v70
	v_lshlrev_b64_e32 v[70:71], 3, v[70:71]
	s_delay_alu instid0(VALU_DEP_1) | instskip(SKIP_1) | instid1(VALU_DEP_2)
	v_add_co_u32 v70, vcc_lo, s12, v70
	s_wait_alu 0xfffd
	v_add_co_ci_u32_e64 v71, null, s13, v71, vcc_lo
	global_load_b64 v[70:71], v[70:71], off
	s_wait_loadcnt 0x0
	v_fma_f64 v[184:185], v[68:69], v[70:71], v[184:185]
	v_add_nc_u32_e32 v70, s33, v90
	v_add_nc_u32_e32 v90, s21, v90
	s_delay_alu instid0(VALU_DEP_2) | instskip(NEXT) | instid1(VALU_DEP_1)
	v_ashrrev_i32_e32 v71, 31, v70
	v_lshlrev_b64_e32 v[70:71], 3, v[70:71]
	s_delay_alu instid0(VALU_DEP_1) | instskip(SKIP_1) | instid1(VALU_DEP_2)
	v_add_co_u32 v70, vcc_lo, s12, v70
	s_wait_alu 0xfffd
	v_add_co_ci_u32_e64 v71, null, s13, v71, vcc_lo
	global_load_b64 v[70:71], v[70:71], off
	s_wait_loadcnt 0x0
	v_fma_f64 v[124:125], v[68:69], v[70:71], v[124:125]
	v_add_nc_u32_e32 v70, s33, v89
	v_add_nc_u32_e32 v89, s21, v89
	s_delay_alu instid0(VALU_DEP_2) | instskip(NEXT) | instid1(VALU_DEP_1)
	v_ashrrev_i32_e32 v71, 31, v70
	v_lshlrev_b64_e32 v[70:71], 3, v[70:71]
	s_delay_alu instid0(VALU_DEP_1) | instskip(SKIP_1) | instid1(VALU_DEP_2)
	v_add_co_u32 v70, vcc_lo, s12, v70
	s_wait_alu 0xfffd
	v_add_co_ci_u32_e64 v71, null, s13, v71, vcc_lo
	global_load_b64 v[70:71], v[70:71], off
	s_wait_loadcnt 0x0
	v_fma_f64 v[102:103], v[68:69], v[70:71], v[102:103]
	v_add_nc_u32_e32 v70, s33, v107
	v_add_nc_u32_e32 v107, s21, v107
	s_delay_alu instid0(VALU_DEP_2) | instskip(NEXT) | instid1(VALU_DEP_1)
	v_ashrrev_i32_e32 v71, 31, v70
	v_lshlrev_b64_e32 v[70:71], 3, v[70:71]
	s_delay_alu instid0(VALU_DEP_1) | instskip(SKIP_1) | instid1(VALU_DEP_2)
	v_add_co_u32 v70, vcc_lo, s12, v70
	s_wait_alu 0xfffd
	v_add_co_ci_u32_e64 v71, null, s13, v71, vcc_lo
	global_load_b64 v[70:71], v[70:71], off
	s_wait_loadcnt 0x0
	v_fma_f64 v[110:111], v[68:69], v[70:71], v[110:111]
	v_add_nc_u32_e32 v70, s33, v93
	v_add_nc_u32_e32 v93, s21, v93
	s_delay_alu instid0(VALU_DEP_2) | instskip(NEXT) | instid1(VALU_DEP_1)
	v_ashrrev_i32_e32 v71, 31, v70
	v_lshlrev_b64_e32 v[70:71], 3, v[70:71]
	s_delay_alu instid0(VALU_DEP_1) | instskip(SKIP_1) | instid1(VALU_DEP_2)
	v_add_co_u32 v70, vcc_lo, s12, v70
	s_wait_alu 0xfffd
	v_add_co_ci_u32_e64 v71, null, s13, v71, vcc_lo
	global_load_b64 v[70:71], v[70:71], off
	s_wait_loadcnt 0x0
	v_fma_f64 v[86:87], v[68:69], v[70:71], v[86:87]
	v_add_nc_u32_e32 v70, s33, v92
	v_add_nc_u32_e32 v92, s21, v92
	s_delay_alu instid0(VALU_DEP_2) | instskip(NEXT) | instid1(VALU_DEP_1)
	v_ashrrev_i32_e32 v71, 31, v70
	v_lshlrev_b64_e32 v[70:71], 3, v[70:71]
	s_delay_alu instid0(VALU_DEP_1) | instskip(SKIP_1) | instid1(VALU_DEP_2)
	v_add_co_u32 v70, vcc_lo, s12, v70
	s_wait_alu 0xfffd
	v_add_co_ci_u32_e64 v71, null, s13, v71, vcc_lo
	global_load_b64 v[70:71], v[70:71], off
	s_wait_loadcnt 0x0
	v_fma_f64 v[187:188], v[68:69], v[70:71], v[187:188]
	v_add_nc_u32_e32 v70, s33, v132
	v_add_nc_u32_e32 v132, s21, v132
	s_delay_alu instid0(VALU_DEP_2) | instskip(NEXT) | instid1(VALU_DEP_1)
	v_ashrrev_i32_e32 v71, 31, v70
	v_lshlrev_b64_e32 v[70:71], 3, v[70:71]
	s_delay_alu instid0(VALU_DEP_1) | instskip(SKIP_1) | instid1(VALU_DEP_2)
	v_add_co_u32 v70, vcc_lo, s12, v70
	s_wait_alu 0xfffd
	v_add_co_ci_u32_e64 v71, null, s13, v71, vcc_lo
	global_load_b64 v[70:71], v[70:71], off
	s_wait_loadcnt 0x0
	v_fma_f64 v[60:61], v[68:69], v[70:71], v[60:61]
	v_add_nc_u32_e32 v70, s33, v123
	v_add_nc_u32_e32 v123, s21, v123
	s_delay_alu instid0(VALU_DEP_2) | instskip(NEXT) | instid1(VALU_DEP_1)
	v_ashrrev_i32_e32 v71, 31, v70
	v_lshlrev_b64_e32 v[70:71], 3, v[70:71]
	s_delay_alu instid0(VALU_DEP_1) | instskip(SKIP_1) | instid1(VALU_DEP_2)
	v_add_co_u32 v70, vcc_lo, s12, v70
	s_wait_alu 0xfffd
	v_add_co_ci_u32_e64 v71, null, s13, v71, vcc_lo
	global_load_b64 v[70:71], v[70:71], off
	s_wait_loadcnt 0x0
	v_fma_f64 v[156:157], v[68:69], v[70:71], v[156:157]
	v_add_nc_u32_e32 v70, s33, v122
	v_add_nc_u32_e32 v122, s21, v122
	s_delay_alu instid0(VALU_DEP_2) | instskip(NEXT) | instid1(VALU_DEP_1)
	v_ashrrev_i32_e32 v71, 31, v70
	v_lshlrev_b64_e32 v[70:71], 3, v[70:71]
	s_delay_alu instid0(VALU_DEP_1) | instskip(SKIP_1) | instid1(VALU_DEP_2)
	v_add_co_u32 v70, vcc_lo, s12, v70
	s_wait_alu 0xfffd
	v_add_co_ci_u32_e64 v71, null, s13, v71, vcc_lo
	global_load_b64 v[70:71], v[70:71], off
	s_wait_loadcnt 0x0
	v_fma_f64 v[158:159], v[68:69], v[70:71], v[158:159]
	s_cbranch_scc0 .LBB0_8
; %bb.9:
	s_clause 0x4
	scratch_load_b64 v[68:69], off, off offset:240 th:TH_LOAD_LU
	scratch_load_b64 v[49:50], off, off offset:248 th:TH_LOAD_LU
	;; [unrolled: 1-line block ×5, first 2 shown]
	s_mov_b32 s4, 0x55555555
	s_mov_b32 s5, 0x3fb55555
	;; [unrolled: 1-line block ×3, first 2 shown]
	s_wait_alu 0xfffe
	s_mov_b32 s8, s4
	v_dual_mov_b32 v65, v63 :: v_dual_mov_b32 v64, v62
	s_mov_b32 s3, -1
	s_wait_loadcnt 0x4
	v_mul_f64_e32 v[88:89], v[68:69], v[28:29]
	v_mul_f64_e32 v[90:91], v[68:69], v[24:25]
	;; [unrolled: 1-line block ×3, first 2 shown]
	scratch_load_b64 v[68:69], off, off offset:232 th:TH_LOAD_LU ; 8-byte Folded Reload
	s_wait_loadcnt 0x4
	v_mul_f64_e32 v[49:50], v[49:50], v[24:25]
	s_wait_loadcnt 0x3
	v_mul_f64_e32 v[126:127], v[78:79], v[38:39]
	s_delay_alu instid0(VALU_DEP_2)
	v_mul_f64_e32 v[8:9], v[22:23], v[49:50]
	scratch_load_b64 v[49:50], off, off offset:184 th:TH_LOAD_LU ; 8-byte Folded Reload
	scratch_store_b64 off, v[8:9], off offset:632 ; 8-byte Folded Spill
	s_wait_loadcnt 0x1
	v_mul_f64_e32 v[24:25], v[68:69], v[28:29]
	v_mul_f64_e32 v[28:29], v[68:69], v[32:33]
	;; [unrolled: 1-line block ×3, first 2 shown]
	scratch_load_b64 v[68:69], off, off offset:192 th:TH_LOAD_LU ; 8-byte Folded Reload
	v_dual_mov_b32 v33, v21 :: v_dual_mov_b32 v32, v20
	v_mul_f64_e32 v[8:9], v[22:23], v[24:25]
	v_dual_mov_b32 v24, v72 :: v_dual_mov_b32 v25, v73
	v_mul_f64_e32 v[140:141], v[22:23], v[140:141]
	s_wait_loadcnt 0x1
	v_mul_f64_e32 v[128:129], v[49:50], v[16:17]
	scratch_store_b64 off, v[8:9], off offset:648 ; 8-byte Folded Spill
	v_mul_f64_e32 v[8:9], v[22:23], v[28:29]
	v_dual_mov_b32 v28, v34 :: v_dual_mov_b32 v29, v35
	scratch_store_b64 off, v[8:9], off offset:232 ; 8-byte Folded Spill
	v_mul_f64_e32 v[8:9], v[22:23], v[88:89]
	v_mul_f64_e32 v[88:89], v[70:71], v[40:41]
	scratch_load_b64 v[70:71], off, off offset:224 th:TH_LOAD_LU ; 8-byte Folded Reload
	v_mul_f64_e32 v[112:113], v[118:119], v[42:43]
	scratch_store_b64 off, v[8:9], off offset:240 ; 8-byte Folded Spill
	v_mul_f64_e32 v[8:9], v[22:23], v[90:91]
	v_mul_f64_e32 v[90:91], v[78:79], v[46:47]
	v_mul_f64_e32 v[46:47], v[118:119], v[46:47]
	v_mul_f64_e32 v[118:119], v[118:119], v[38:39]
	v_mul_f64_e32 v[142:143], v[16:17], v[88:89]
	scratch_store_b64 off, v[8:9], off offset:640 ; 8-byte Folded Spill
	v_mul_f64_e32 v[8:9], v[22:23], v[92:93]
	v_mul_f64_e32 v[22:23], v[49:50], v[44:45]
	;; [unrolled: 1-line block ×4, first 2 shown]
	scratch_store_b64 off, v[8:9], off offset:248 ; 8-byte Folded Spill
	s_wait_loadcnt 0x1
	v_mul_f64_e32 v[40:41], v[68:69], v[40:41]
	v_mul_f64_e32 v[44:45], v[68:69], v[44:45]
	s_wait_loadcnt 0x0
	v_mul_f64_e32 v[92:93], v[70:71], v[42:43]
	v_mul_f64_e32 v[42:43], v[68:69], v[36:37]
	;; [unrolled: 1-line block ×6, first 2 shown]
	scratch_load_b64 v[78:79], off, off offset:128 th:TH_LOAD_LU ; 8-byte Folded Reload
	v_mul_f64_e32 v[88:89], v[18:19], v[92:93]
	v_mul_f64_e32 v[70:71], v[16:17], v[42:43]
	;; [unrolled: 1-line block ×5, first 2 shown]
	v_dual_mov_b32 v22, v130 :: v_dual_mov_b32 v23, v131
	scratch_store_b64 off, v[8:9], off offset:216 ; 8-byte Folded Spill
	v_mul_f64_e32 v[8:9], v[18:19], v[126:127]
	v_mul_f64_e32 v[42:43], v[108:109], v[42:43]
	scratch_store_b64 off, v[8:9], off offset:200 ; 8-byte Folded Spill
	v_mul_f64_e32 v[8:9], v[18:19], v[46:47]
	v_mul_f64_e32 v[46:47], v[16:17], v[128:129]
	;; [unrolled: 1-line block ×7, first 2 shown]
	v_dual_mov_b32 v128, v138 :: v_dual_mov_b32 v129, v139
	v_mul_f64_e32 v[42:43], v[4:5], v[42:43]
	scratch_store_b64 off, v[8:9], off offset:192 ; 8-byte Folded Spill
	v_fma_f64 v[8:9], v[12:13], v[68:69], v[16:17]
	v_mul_f64_e32 v[68:69], v[148:149], v[92:93]
	v_mul_f64_e32 v[112:113], v[12:13], v[49:50]
	v_add_f64_e64 v[49:50], v[66:67], -v[10:11]
	scratch_store_b64 off, v[8:9], off offset:184 ; 8-byte Folded Spill
	v_fma_f64 v[8:9], v[14:15], v[70:71], v[68:69]
	v_mul_f64_e32 v[68:69], v[84:85], v[90:91]
	v_mul_f64_e32 v[70:71], v[12:13], v[142:143]
	v_add_f64_e64 v[12:13], v[134:135], -v[136:137]
	v_mul_f64_e32 v[90:91], v[14:15], v[88:89]
	v_add_f64_e64 v[88:89], v[170:171], -v[172:173]
	v_dual_mov_b32 v142, v174 :: v_dual_mov_b32 v143, v175
	scratch_store_b64 off, v[8:9], off offset:208 ; 8-byte Folded Spill
	v_mul_f64_e32 v[68:69], v[14:15], v[68:69]
	v_add_f64_e64 v[14:15], v[128:129], -v[168:169]
	v_mul_f64_e32 v[12:13], s[4:5], v[12:13]
	v_fma_f64 v[42:43], v[114:115], v[70:71], v[42:43]
	s_wait_alu 0xfffe
	s_delay_alu instid0(VALU_DEP_2) | instskip(SKIP_1) | instid1(VALU_DEP_1)
	v_fma_f64 v[12:13], v[14:15], s[8:9], -v[12:13]
	v_add_f64_e64 v[14:15], v[180:181], -v[144:145]
	v_mul_f64_e32 v[14:15], s[4:5], v[14:15]
	s_delay_alu instid0(VALU_DEP_1)
	v_fma_f64 v[14:15], v[49:50], s[8:9], -v[14:15]
	scratch_load_b64 v[49:50], off, off offset:112 th:TH_LOAD_LU ; 8-byte Folded Reload
	s_wait_loadcnt 0x0
	v_mul_f64_e32 v[12:13], v[49:50], v[12:13]
	scratch_load_b64 v[49:50], off, off offset:176 th:TH_LOAD_LU ; 8-byte Folded Reload
	s_wait_loadcnt 0x0
	v_fma_f64 v[8:9], v[49:50], v[14:15], -v[12:13]
	v_add_f64_e64 v[14:15], v[74:75], -v[76:77]
	v_dual_mov_b32 v12, v144 :: v_dual_mov_b32 v13, v145
	scratch_load_b64 v[144:145], off, off offset:528 th:TH_LOAD_LU ; 8-byte Folded Reload
	scratch_store_b64 off, v[8:9], off offset:112 ; 8-byte Folded Spill
	v_dual_mov_b32 v8, v53 :: v_dual_mov_b32 v9, v54
	v_mul_f64_e32 v[14:15], s[4:5], v[14:15]
	s_delay_alu instid0(VALU_DEP_2) | instskip(NEXT) | instid1(VALU_DEP_1)
	v_add_f64_e64 v[49:50], v[8:9], -v[176:177]
	v_fma_f64 v[14:15], v[49:50], s[8:9], -v[14:15]
	s_delay_alu instid0(VALU_DEP_1) | instskip(SKIP_3) | instid1(VALU_DEP_1)
	v_mul_f64_e32 v[14:15], v[78:79], v[14:15]
	scratch_load_b64 v[78:79], off, off offset:152 th:TH_LOAD_LU ; 8-byte Folded Reload
	s_wait_loadcnt 0x1
	v_add_f64_e64 v[49:50], v[51:52], -v[144:145]
	v_mul_f64_e32 v[49:50], s[4:5], v[49:50]
	s_delay_alu instid0(VALU_DEP_1) | instskip(SKIP_2) | instid1(VALU_DEP_2)
	v_fma_f64 v[49:50], v[88:89], s[8:9], -v[49:50]
	v_add_f64_e64 v[88:89], v[20:21], -v[130:131]
	s_wait_loadcnt 0x0
	v_fma_f64 v[14:15], v[78:79], v[49:50], -v[14:15]
	v_dual_mov_b32 v78, v136 :: v_dual_mov_b32 v79, v137
	v_dual_mov_b32 v137, v77 :: v_dual_mov_b32 v136, v76
	scratch_store_b64 off, v[14:15], off offset:128 ; 8-byte Folded Spill
	v_dual_mov_b32 v14, v51 :: v_dual_mov_b32 v15, v52
	s_clause 0x7
	scratch_load_b64 v[51:52], off, off offset:504 th:TH_LOAD_LU
	scratch_load_b64 v[53:54], off, off offset:520 th:TH_LOAD_LU
	;; [unrolled: 1-line block ×5, first 2 shown]
	scratch_load_b64 v[16:17], off, off
	scratch_load_b64 v[44:45], off, off offset:488 th:TH_LOAD_LU
	scratch_load_b64 v[92:93], off, off offset:552 th:TH_LOAD_LU
	s_wait_loadcnt 0x6
	v_add_f64_e64 v[49:50], v[51:52], -v[53:54]
	s_wait_loadcnt 0x4
	v_add_f64_e64 v[118:119], v[62:63], -v[142:143]
	s_wait_loadcnt 0x0
	v_dual_mov_b32 v133, v93 :: v_dual_mov_b32 v132, v92
	s_delay_alu instid0(VALU_DEP_3) | instskip(NEXT) | instid1(VALU_DEP_1)
	v_mul_f64_e32 v[49:50], s[4:5], v[49:50]
	v_fma_f64 v[49:50], v[88:89], s[8:9], -v[49:50]
	v_add_f64_e64 v[88:89], v[76:77], -v[64:65]
	s_delay_alu instid0(VALU_DEP_1) | instskip(NEXT) | instid1(VALU_DEP_1)
	v_mul_f64_e32 v[88:89], s[4:5], v[88:89]
	v_fma_f64 v[88:89], v[118:119], s[8:9], -v[88:89]
	v_mul_f64_e32 v[118:119], v[38:39], v[16:17]
	s_delay_alu instid0(VALU_DEP_1) | instskip(NEXT) | instid1(VALU_DEP_1)
	v_mul_f64_e32 v[118:119], v[38:39], v[118:119]
	v_mul_f64_e32 v[88:89], v[118:119], v[88:89]
	;; [unrolled: 1-line block ×3, first 2 shown]
	s_delay_alu instid0(VALU_DEP_1) | instskip(NEXT) | instid1(VALU_DEP_1)
	v_mul_f64_e32 v[118:119], v[92:93], v[118:119]
	v_fma_f64 v[16:17], v[118:119], v[49:50], -v[88:89]
	v_add_f64_e64 v[118:119], v[72:73], -v[120:121]
	v_add_f64_e64 v[72:73], v[12:13], -v[78:79]
	v_dual_mov_b32 v12, v142 :: v_dual_mov_b32 v13, v143
	scratch_store_b64 off, v[16:17], off offset:152 ; 8-byte Folded Spill
	v_dual_mov_b32 v16, v120 :: v_dual_mov_b32 v17, v121
	v_dual_mov_b32 v120, v128 :: v_dual_mov_b32 v121, v129
	v_mul_f64_e32 v[72:73], s[4:5], v[72:73]
	s_clause 0xd
	scratch_load_b64 v[138:139], off, off offset:584 th:TH_LOAD_LU
	scratch_load_b64 v[178:179], off, off offset:592 th:TH_LOAD_LU
	;; [unrolled: 1-line block ×12, first 2 shown]
	scratch_load_b32 v107, off, off offset:72 th:TH_LOAD_LU
	scratch_load_b32 v109, off, off offset:76 th:TH_LOAD_LU
	s_wait_loadcnt 0xc
	v_add_f64_e64 v[88:89], v[138:139], -v[178:179]
	s_wait_loadcnt 0x8
	v_add_f64_e64 v[126:127], v[20:21], -v[34:35]
	s_wait_loadcnt 0x2
	v_mul_f64_e32 v[142:143], v[130:131], v[26:27]
	s_wait_loadcnt 0x1
	v_add_nc_u32_e32 v107, s2, v107
	s_delay_alu instid0(VALU_DEP_4) | instskip(NEXT) | instid1(VALU_DEP_1)
	v_mul_f64_e32 v[88:89], s[4:5], v[88:89]
	v_fma_f64 v[88:89], v[118:119], s[8:9], -v[88:89]
	v_add_f64_e64 v[118:119], v[174:175], -v[182:183]
	s_delay_alu instid0(VALU_DEP_1) | instskip(NEXT) | instid1(VALU_DEP_1)
	v_mul_f64_e32 v[118:119], s[4:5], v[118:119]
	v_fma_f64 v[118:119], v[126:127], s[8:9], -v[118:119]
	v_mul_f64_e32 v[126:127], v[122:123], v[36:37]
	s_delay_alu instid0(VALU_DEP_1) | instskip(NEXT) | instid1(VALU_DEP_1)
	v_mul_f64_e32 v[126:127], v[122:123], v[126:127]
	v_mul_f64_e32 v[118:119], v[126:127], v[118:119]
	;; [unrolled: 1-line block ×3, first 2 shown]
	s_delay_alu instid0(VALU_DEP_1) | instskip(NEXT) | instid1(VALU_DEP_1)
	v_mul_f64_e32 v[126:127], v[92:93], v[126:127]
	v_fma_f64 v[88:89], v[126:127], v[88:89], -v[118:119]
	v_mul_f64_e32 v[118:119], v[78:79], v[30:31]
	v_mul_f64_e32 v[126:127], v[130:131], v[30:31]
	scratch_load_b64 v[30:31], off, off offset:104 th:TH_LOAD_LU ; 8-byte Folded Reload
	v_mul_f64_e32 v[130:131], v[130:131], v[28:29]
	v_mul_f64_e32 v[28:29], v[78:79], v[28:29]
	s_wait_loadcnt 0x0
	v_mul_f64_e32 v[128:129], v[30:31], v[26:27]
	v_add_f64_e64 v[26:27], v[180:181], -v[134:135]
	v_add_f64_e64 v[134:135], v[144:145], -v[136:137]
	;; [unrolled: 1-line block ×3, first 2 shown]
	s_delay_alu instid0(VALU_DEP_3) | instskip(NEXT) | instid1(VALU_DEP_3)
	v_mul_f64_e32 v[26:27], s[4:5], v[26:27]
	v_fma_f64 v[72:73], v[134:135], s[8:9], -v[72:73]
	v_dual_mov_b32 v135, v9 :: v_dual_mov_b32 v134, v8
	scratch_load_b64 v[8:9], off, off offset:472 th:TH_LOAD_LU ; 8-byte Folded Reload
	v_fma_f64 v[26:27], v[30:31], s[8:9], -v[26:27]
	v_mul_f64_e32 v[30:31], v[46:47], v[72:73]
	v_add_f64_e64 v[72:73], v[138:139], -v[174:175]
	s_wait_loadcnt 0x0
	v_mul_f64_e32 v[46:47], v[78:79], v[8:9]
	v_add_f64_e64 v[78:79], v[178:179], -v[182:183]
	s_delay_alu instid0(VALU_DEP_2) | instskip(NEXT) | instid1(VALU_DEP_1)
	v_mul_f64_e32 v[46:47], v[8:9], v[46:47]
	v_fma_f64 v[26:27], v[46:47], v[26:27], -v[30:31]
	v_add_f64_e64 v[46:47], v[51:52], -v[76:77]
	v_add_f64_e64 v[30:31], v[53:54], -v[64:65]
	scratch_load_b64 v[52:53], off, off offset:536 ; 8-byte Folded Reload
	v_mul_f64_e32 v[26:27], s[4:5], v[26:27]
	v_mul_f64_e32 v[46:47], s[4:5], v[46:47]
	v_mul_f64_e32 v[30:31], s[4:5], v[30:31]
	s_delay_alu instid0(VALU_DEP_2)
	v_fma_f64 v[46:47], v[72:73], s[8:9], -v[46:47]
	scratch_load_b64 v[72:73], off, off offset:144 th:TH_LOAD_LU ; 8-byte Folded Reload
	v_fma_f64 v[30:31], v[78:79], s[8:9], -v[30:31]
	v_add_f64_e64 v[78:79], v[170:171], -v[134:135]
	v_add_f64_e64 v[134:135], v[172:173], -v[176:177]
	s_wait_loadcnt 0x0
	s_delay_alu instid0(VALU_DEP_3)
	v_mul_f64_e32 v[30:31], v[72:73], v[30:31]
	scratch_load_b64 v[72:73], off, off offset:160 th:TH_LOAD_LU ; 8-byte Folded Reload
	s_wait_loadcnt 0x0
	v_fma_f64 v[30:31], v[72:73], v[46:47], -v[30:31]
	v_add_f64_e64 v[46:47], v[10:11], -v[168:169]
	v_add_f64_e64 v[72:73], v[66:67], -v[120:121]
	;; [unrolled: 1-line block ×3, first 2 shown]
	s_clause 0x1
	scratch_load_b64 v[10:11], off, off offset:456 th:TH_LOAD_LU
	scratch_load_b64 v[66:67], off, off offset:448 th:TH_LOAD_LU
	v_mul_f64_e32 v[34:35], v[8:9], v[28:29]
	v_mul_f64_e32 v[46:47], s[4:5], v[46:47]
	;; [unrolled: 1-line block ×3, first 2 shown]
	s_delay_alu instid0(VALU_DEP_2) | instskip(NEXT) | instid1(VALU_DEP_2)
	v_fma_f64 v[46:47], v[134:135], s[8:9], -v[46:47]
	v_fma_f64 v[72:73], v[78:79], s[8:9], -v[72:73]
	v_add_f64_e64 v[78:79], v[24:25], -v[20:21]
	s_delay_alu instid0(VALU_DEP_3) | instskip(SKIP_1) | instid1(VALU_DEP_2)
	v_mul_f64_e32 v[18:19], v[18:19], v[46:47]
	v_add_f64_e64 v[46:47], v[22:23], -v[12:13]
	v_fma_f64 v[18:19], v[140:141], v[72:73], -v[18:19]
	v_add_f64_e64 v[72:73], v[32:33], -v[62:63]
	s_delay_alu instid0(VALU_DEP_3) | instskip(NEXT) | instid1(VALU_DEP_3)
	v_mul_f64_e32 v[46:47], s[4:5], v[46:47]
	v_fma_f64 v[18:19], v[18:19], s[8:9], -v[26:27]
	s_delay_alu instid0(VALU_DEP_3) | instskip(NEXT) | instid1(VALU_DEP_3)
	v_mul_f64_e32 v[72:73], s[4:5], v[72:73]
	v_fma_f64 v[46:47], v[120:121], s[8:9], -v[46:47]
	v_mul_f64_e32 v[26:27], s[4:5], v[30:31]
	s_delay_alu instid0(VALU_DEP_3)
	v_fma_f64 v[72:73], v[78:79], s[8:9], -v[72:73]
	scratch_load_b64 v[78:79], off, off offset:120 th:TH_LOAD_LU ; 8-byte Folded Reload
	s_wait_loadcnt 0x0
	v_mul_f64_e32 v[46:47], v[78:79], v[46:47]
	scratch_load_b64 v[78:79], off, off offset:136 th:TH_LOAD_LU ; 8-byte Folded Reload
	s_wait_loadcnt 0x0
	v_fma_f64 v[46:47], v[78:79], v[72:73], -v[46:47]
	v_mul_f64_e32 v[72:73], v[8:9], v[118:119]
	scratch_load_b64 v[118:119], off, off offset:32 th:TH_LOAD_LU ; 8-byte Folded Reload
	v_mul_f64_e32 v[78:79], v[8:9], v[128:129]
	v_fma_f64 v[26:27], v[46:47], s[8:9], -v[26:27]
	v_mul_f64_e32 v[72:73], v[154:155], v[72:73]
	s_delay_alu instid0(VALU_DEP_1) | instskip(SKIP_1) | instid1(VALU_DEP_4)
	v_mul_f64_e32 v[72:73], v[4:5], v[72:73]
	s_wait_loadcnt 0x0
	v_mul_f64_e32 v[78:79], v[118:119], v[78:79]
	s_delay_alu instid0(VALU_DEP_1) | instskip(NEXT) | instid1(VALU_DEP_1)
	v_fma_f64 v[72:73], v[152:153], v[78:79], v[72:73]
	v_fma_f64 v[34:35], v[56:57], v[34:35], v[72:73]
	v_mul_f64_e32 v[72:73], v[8:9], v[142:143]
	s_delay_alu instid0(VALU_DEP_1) | instskip(SKIP_4) | instid1(VALU_DEP_1)
	v_mul_f64_e32 v[78:79], v[154:155], v[72:73]
	v_mul_f64_e32 v[56:57], v[56:57], v[72:73]
	;; [unrolled: 1-line block ×3, first 2 shown]
	scratch_load_b64 v[154:155], off, off offset:512 ; 8-byte Folded Reload
	v_mul_f64_e32 v[72:73], v[152:153], v[72:73]
	v_fma_f64 v[56:57], v[118:119], v[56:57], v[72:73]
	v_mul_f64_e32 v[72:73], v[118:119], v[78:79]
	v_mul_f64_e32 v[78:79], v[8:9], v[126:127]
	scratch_load_b64 v[8:9], off, off offset:216 th:TH_LOAD_LU ; 8-byte Folded Reload
	s_wait_loadcnt 0x1
	v_mul_f64_e32 v[72:73], v[154:155], v[72:73]
	v_mul_f64_e32 v[70:71], v[154:155], v[112:113]
	v_add_nc_u32_e32 v112, s2, v109
	s_delay_alu instid0(VALU_DEP_3) | instskip(NEXT) | instid1(VALU_DEP_3)
	v_fma_f64 v[72:73], v[152:153], v[78:79], v[72:73]
	v_fma_f64 v[152:153], v[114:115], v[40:41], v[70:71]
	v_mul_f64_e32 v[40:41], v[84:85], v[80:81]
	s_clause 0x2
	scratch_load_b64 v[84:85], off, off offset:464 th:TH_LOAD_LU
	scratch_load_b64 v[80:81], off, off offset:416 th:TH_LOAD_LU
	scratch_load_b32 v109, off, off offset:84 th:TH_LOAD_LU
	s_wait_loadcnt 0x3
	v_fma_f64 v[64:65], v[150:151], v[8:9], v[42:43]
	scratch_load_b64 v[8:9], off, off offset:200 th:TH_LOAD_LU ; 8-byte Folded Reload
	v_mul_f64_e32 v[40:41], v[4:5], v[40:41]
	v_mul_f64_e32 v[42:43], v[0:1], v[66:67]
	v_add_f64_e64 v[34:35], v[34:35], -v[64:65]
	s_delay_alu instid0(VALU_DEP_3) | instskip(NEXT) | instid1(VALU_DEP_3)
	v_fma_f64 v[40:41], v[148:149], v[90:91], v[40:41]
	v_mul_f64_e32 v[42:43], v[66:67], v[42:43]
	scratch_load_b64 v[90:91], off, off offset:408 th:TH_LOAD_LU ; 8-byte Folded Reload
	s_wait_loadcnt 0x3
	v_fma_f64 v[70:71], v[10:11], 2.0, v[80:81]
	s_wait_loadcnt 0x2
	v_add_nc_u32_e32 v114, s2, v109
	scratch_load_b32 v109, off, off offset:80 th:TH_LOAD_LU ; 4-byte Folded Reload
	v_ashrrev_i32_e32 v115, 31, v114
	s_delay_alu instid0(VALU_DEP_1)
	v_lshlrev_b64_e32 v[114:115], 3, v[114:115]
	s_wait_loadcnt 0x2
	v_fma_f64 v[20:21], v[146:147], v[8:9], v[40:41]
	scratch_load_b64 v[8:9], off, off offset:192 th:TH_LOAD_LU ; 8-byte Folded Reload
	v_mul_f64_e32 v[40:41], v[154:155], v[68:69]
	v_mul_f64_e32 v[68:69], v[84:85], v[84:85]
	v_mul_f64_e32 v[78:79], v[70:71], v[84:85]
	s_delay_alu instid0(VALU_DEP_2) | instskip(NEXT) | instid1(VALU_DEP_1)
	v_fma_f64 v[68:69], v[0:1], v[42:43], v[68:69]
	v_mul_f64_e32 v[68:69], v[10:11], v[68:69]
	s_wait_loadcnt 0x1
	v_add_nc_u32_e32 v118, s2, v109
	s_delay_alu instid0(VALU_DEP_1) | instskip(NEXT) | instid1(VALU_DEP_1)
	v_ashrrev_i32_e32 v119, 31, v118
	v_lshlrev_b64_e32 v[118:119], 3, v[118:119]
	s_wait_loadcnt 0x0
	v_fma_f64 v[22:23], v[148:149], v[8:9], v[40:41]
	scratch_load_b64 v[8:9], off, off offset:480 th:TH_LOAD_LU ; 8-byte Folded Reload
	s_wait_loadcnt 0x0
	v_mul_f64_e32 v[40:41], v[4:5], v[8:9]
	s_delay_alu instid0(VALU_DEP_1) | instskip(NEXT) | instid1(VALU_DEP_1)
	v_mul_f64_e32 v[40:41], v[8:9], v[40:41]
	v_mul_f64_e32 v[40:41], v[4:5], v[40:41]
	s_delay_alu instid0(VALU_DEP_1) | instskip(SKIP_1) | instid1(VALU_DEP_2)
	v_fma_f64 v[42:43], v[0:1], v[42:43], v[40:41]
	v_fma_f64 v[40:41], v[84:85], v[84:85], v[40:41]
	v_mul_f64_e32 v[42:43], v[10:11], v[42:43]
	s_delay_alu instid0(VALU_DEP_2) | instskip(NEXT) | instid1(VALU_DEP_2)
	v_mul_f64_e32 v[40:41], v[10:11], v[40:41]
	v_fma_f64 v[42:43], v[84:85], v[78:79], v[42:43]
	v_add_f64_e32 v[78:79], v[10:11], v[80:81]
	scratch_load_b64 v[10:11], off, off offset:440 th:TH_LOAD_LU ; 8-byte Folded Reload
	v_mul_f64_e32 v[80:81], v[70:71], v[8:9]
	v_mul_f64_e32 v[70:71], v[70:71], v[66:67]
	s_delay_alu instid0(VALU_DEP_2) | instskip(NEXT) | instid1(VALU_DEP_2)
	v_mul_f64_e32 v[80:81], v[4:5], v[80:81]
	v_mul_f64_e32 v[70:71], v[0:1], v[70:71]
	s_delay_alu instid0(VALU_DEP_2) | instskip(NEXT) | instid1(VALU_DEP_2)
	;; [unrolled: 3-line block ×3, first 2 shown]
	v_fma_f64 v[68:69], v[4:5], v[80:81], v[68:69]
	v_fma_f64 v[40:41], v[0:1], v[70:71], v[40:41]
	s_wait_loadcnt 0x0
	v_mul_f64_e32 v[70:71], v[10:11], v[78:79]
	s_delay_alu instid0(VALU_DEP_3) | instskip(NEXT) | instid1(VALU_DEP_3)
	v_mul_f64_e32 v[68:69], v[10:11], v[68:69]
	v_mul_f64_e32 v[40:41], v[10:11], v[40:41]
	v_mul_f64_e32 v[42:43], v[10:11], v[42:43]
	s_delay_alu instid0(VALU_DEP_4)
	v_mul_f64_e32 v[78:79], v[66:67], v[70:71]
	v_mul_f64_e32 v[70:71], v[70:71], v[8:9]
	v_mov_b32_e32 v67, v39
	v_ashrrev_i32_e32 v113, 31, v112
	v_mov_b32_e32 v66, v38
	v_ashrrev_i32_e32 v108, 31, v107
	s_delay_alu instid0(VALU_DEP_3) | instskip(NEXT) | instid1(VALU_DEP_2)
	v_lshlrev_b64_e32 v[112:113], 3, v[112:113]
	v_lshlrev_b64_e32 v[107:108], 3, v[107:108]
	v_mul_f64_e32 v[80:81], v[8:9], v[78:79]
	v_mul_f64_e32 v[78:79], v[78:79], v[84:85]
	;; [unrolled: 1-line block ×3, first 2 shown]
	scratch_load_b64 v[84:85], off, off offset:400 th:TH_LOAD_LU ; 8-byte Folded Reload
	v_mul_f64_e32 v[8:9], v[52:53], v[154:155]
	v_mul_f64_e32 v[78:79], v[154:155], v[78:79]
	v_mul_f64_e32 v[70:71], v[52:53], v[70:71]
	s_delay_alu instid0(VALU_DEP_3) | instskip(SKIP_2) | instid1(VALU_DEP_3)
	v_mul_f64_e32 v[68:69], v[8:9], v[68:69]
	v_mul_f64_e32 v[40:41], v[8:9], v[40:41]
	;; [unrolled: 1-line block ×4, first 2 shown]
	s_wait_loadcnt 0x0
	s_delay_alu instid0(VALU_DEP_3) | instskip(NEXT) | instid1(VALU_DEP_2)
	v_mul_f64_e32 v[40:41], v[84:85], v[40:41]
	v_fma_f64 v[68:69], v[80:81], v[84:85], v[68:69]
	s_delay_alu instid0(VALU_DEP_2)
	v_fma_f64 v[40:41], v[80:81], v[90:91], v[40:41]
	v_mul_f64_e32 v[80:81], v[70:71], v[90:91]
	scratch_load_b64 v[90:91], off, off offset:328 th:TH_LOAD_LU ; 8-byte Folded Reload
	v_fma_f64 v[80:81], v[84:85], v[78:79], v[80:81]
	scratch_load_b64 v[84:85], off, off offset:392 th:TH_LOAD_LU ; 8-byte Folded Reload
	s_wait_loadcnt 0x0
	v_fma_f64 v[62:63], v[70:71], v[84:85], v[68:69]
	s_clause 0x1
	scratch_load_b64 v[68:69], off, off offset:368 th:TH_LOAD_LU
	scratch_load_b64 v[70:71], off, off offset:384 th:TH_LOAD_LU
	v_fma_f64 v[40:41], v[78:79], v[84:85], v[40:41]
	scratch_load_b64 v[78:79], off, off offset:344 th:TH_LOAD_LU ; 8-byte Folded Reload
	v_fma_f64 v[42:43], v[84:85], v[42:43], v[80:81]
	s_clause 0x1
	scratch_load_b64 v[80:81], off, off offset:352 th:TH_LOAD_LU
	scratch_load_b64 v[84:85], off, off offset:336 th:TH_LOAD_LU
	s_wait_loadcnt 0x4
	v_add_co_u32 v68, vcc_lo, s18, v68
	s_wait_alu 0xfffd
	v_add_co_ci_u32_e64 v69, null, s19, v69, vcc_lo
	s_wait_loadcnt 0x3
	v_add_co_u32 v70, vcc_lo, s18, v70
	s_wait_alu 0xfffd
	v_add_co_ci_u32_e64 v71, null, s19, v71, vcc_lo
	;; [unrolled: 4-line block ×5, first 2 shown]
	v_add_co_u32 v90, vcc_lo, s18, v90
	s_wait_alu 0xfffd
	v_add_co_ci_u32_e64 v91, null, s19, v91, vcc_lo
	v_add_co_u32 v107, vcc_lo, s18, v107
	s_wait_alu 0xfffd
	v_add_co_ci_u32_e64 v108, null, s19, v108, vcc_lo
	;; [unrolled: 3-line block ×5, first 2 shown]
	s_clause 0x5
	global_load_b64 v[68:69], v[68:69], off
	global_load_b64 v[107:108], v[107:108], off
	;; [unrolled: 1-line block ×6, first 2 shown]
	s_clause 0x2
	scratch_load_b64 v[120:121], off, off offset:320 th:TH_LOAD_LU
	scratch_load_b64 v[140:141], off, off offset:48 th:TH_LOAD_LU
	scratch_load_b128 v[8:11], off, off offset:424 th:TH_LOAD_LU
	s_wait_loadcnt 0x2
	v_mul_f64_e32 v[120:121], v[120:121], v[68:69]
	s_wait_loadcnt 0x1
	v_mul_f64_e32 v[68:69], v[140:141], v[68:69]
	v_mul_f64_e32 v[126:127], v[140:141], v[107:108]
	s_delay_alu instid0(VALU_DEP_3) | instskip(NEXT) | instid1(VALU_DEP_3)
	v_mul_f64_e32 v[120:121], v[66:67], v[120:121]
	v_mul_f64_e32 v[68:69], v[38:39], v[68:69]
	s_delay_alu instid0(VALU_DEP_3) | instskip(SKIP_1) | instid1(VALU_DEP_4)
	v_mul_f64_e32 v[126:127], v[38:39], v[126:127]
	v_add_f64_e64 v[38:39], v[72:73], -v[152:153]
	v_mul_f64_e32 v[120:121], v[189:190], v[120:121]
	s_delay_alu instid0(VALU_DEP_4) | instskip(NEXT) | instid1(VALU_DEP_4)
	v_mul_f64_e32 v[128:129], v[58:59], v[68:69]
	v_mul_f64_e32 v[126:127], v[189:190], v[126:127]
	v_mul_f64_e32 v[68:69], v[116:117], v[68:69]
	v_mul_f64_e32 v[38:39], s[4:5], v[38:39]
	s_wait_loadcnt 0x0
	v_mul_f64_e32 v[120:121], v[8:9], v[120:121]
	s_delay_alu instid0(VALU_DEP_4)
	v_fma_f64 v[126:127], v[8:9], v[128:129], v[126:127]
	s_clause 0x3
	global_load_b64 v[70:71], v[70:71], off
	global_load_b64 v[112:113], v[112:113], off
	global_load_b64 v[84:85], v[84:85], off
	global_load_b64 v[90:91], v[90:91], off
	s_clause 0x2
	scratch_load_b64 v[128:129], off, off offset:312 th:TH_LOAD_LU
	scratch_load_b64 v[142:143], off, off offset:56 th:TH_LOAD_LU
	scratch_load_b64 v[74:75], off, off th:TH_LOAD_LU
	v_mul_f64_e32 v[8:9], v[8:9], v[68:69]
	v_mul_f64_e32 v[120:121], v[52:53], v[120:121]
	s_delay_alu instid0(VALU_DEP_2)
	v_mul_f64_e32 v[8:9], v[52:53], v[8:9]
	s_wait_loadcnt 0x2
	v_mul_f64_e32 v[128:129], v[128:129], v[70:71]
	s_wait_loadcnt 0x1
	v_mul_f64_e32 v[70:71], v[142:143], v[70:71]
	v_mul_f64_e32 v[130:131], v[142:143], v[112:113]
	s_wait_loadcnt 0x0
	v_mul_f64_e32 v[30:31], v[74:75], v[107:108]
	s_delay_alu instid0(VALU_DEP_4) | instskip(NEXT) | instid1(VALU_DEP_4)
	v_mul_f64_e32 v[128:129], v[122:123], v[128:129]
	v_mul_f64_e32 v[70:71], v[122:123], v[70:71]
	s_delay_alu instid0(VALU_DEP_4) | instskip(NEXT) | instid1(VALU_DEP_4)
	v_mul_f64_e32 v[130:131], v[122:123], v[130:131]
	;; [unrolled: 3-line block ×3, first 2 shown]
	v_mul_f64_e32 v[134:135], v[102:103], v[70:71]
	s_delay_alu instid0(VALU_DEP_4)
	v_mul_f64_e32 v[130:131], v[124:125], v[130:131]
	v_mul_f64_e32 v[70:71], v[184:185], v[70:71]
	;; [unrolled: 1-line block ×5, first 2 shown]
	v_fma_f64 v[130:131], v[10:11], v[134:135], v[130:131]
	v_mul_f64_e32 v[10:11], v[10:11], v[70:71]
	v_mul_f64_e32 v[70:71], v[74:75], v[78:79]
	v_mul_f64_e32 v[78:79], v[140:141], v[78:79]
	v_mul_f64_e32 v[68:69], v[52:53], v[68:69]
	v_mul_f64_e32 v[128:129], v[132:133], v[128:129]
	v_mul_f64_e32 v[10:11], v[52:53], v[10:11]
	v_mul_f64_e32 v[70:71], v[66:67], v[70:71]
	v_mul_f64_e32 v[78:79], v[66:67], v[78:79]
	s_delay_alu instid0(VALU_DEP_2) | instskip(SKIP_4) | instid1(VALU_DEP_2)
	v_fma_f64 v[70:71], v[116:117], v[70:71], v[120:121]
	scratch_load_b64 v[116:117], off, off offset:376 th:TH_LOAD_LU ; 8-byte Folded Reload
	v_fma_f64 v[8:9], v[189:190], v[78:79], v[8:9]
	v_mul_f64_e32 v[78:79], v[36:37], v[84:85]
	v_fma_f64 v[30:31], v[52:53], v[30:31], v[70:71]
	v_mul_f64_e32 v[78:79], v[122:123], v[78:79]
	s_delay_alu instid0(VALU_DEP_1) | instskip(SKIP_1) | instid1(VALU_DEP_1)
	v_fma_f64 v[68:69], v[184:185], v[78:79], v[68:69]
	v_mul_f64_e32 v[78:79], v[142:143], v[84:85]
	v_mul_f64_e32 v[78:79], v[122:123], v[78:79]
	s_delay_alu instid0(VALU_DEP_1)
	v_fma_f64 v[10:11], v[124:125], v[78:79], v[10:11]
	s_wait_loadcnt 0x0
	v_add_co_u32 v116, vcc_lo, s18, v116
	s_wait_alu 0xfffd
	v_add_co_ci_u32_e64 v117, null, s19, v117, vcc_lo
	global_load_b64 v[116:117], v[116:117], off
	s_clause 0x3
	scratch_load_b64 v[120:121], off, off offset:304 th:TH_LOAD_LU
	scratch_load_b64 v[12:13], off, off offset:648 th:TH_LOAD_LU
	;; [unrolled: 1-line block ×4, first 2 shown]
	s_wait_loadcnt 0x3
	v_mul_f64_e32 v[120:121], v[120:121], v[116:117]
	s_wait_loadcnt 0x2
	v_mul_f64_e32 v[78:79], v[164:165], v[12:13]
	scratch_load_b64 v[12:13], off, off offset:632 th:TH_LOAD_LU ; 8-byte Folded Reload
	v_mul_f64_e32 v[120:121], v[132:133], v[120:121]
	v_mul_f64_e32 v[78:79], v[4:5], v[78:79]
	s_delay_alu instid0(VALU_DEP_2)
	v_mul_f64_e32 v[120:121], v[86:87], v[120:121]
	s_wait_loadcnt 0x0
	v_mul_f64_e32 v[84:85], v[2:3], v[12:13]
	scratch_load_b64 v[12:13], off, off offset:240 th:TH_LOAD_LU ; 8-byte Folded Reload
	v_mul_f64_e32 v[28:29], v[162:163], v[14:15]
	v_fma_f64 v[78:79], v[166:167], v[84:85], v[78:79]
	v_mul_f64_e32 v[84:85], v[164:165], v[14:15]
	scratch_load_b64 v[14:15], off, off offset:128 th:TH_LOAD_LU ; 8-byte Folded Reload
	v_mul_f64_e32 v[84:85], v[2:3], v[84:85]
	s_delay_alu instid0(VALU_DEP_1) | instskip(SKIP_1) | instid1(VALU_DEP_1)
	v_mul_f64_e32 v[84:85], v[154:155], v[84:85]
	s_wait_loadcnt 0x1
	v_fma_f64 v[32:33], v[166:167], v[12:13], v[84:85]
	scratch_load_b64 v[12:13], off, off offset:248 th:TH_LOAD_LU ; 8-byte Folded Reload
	v_add_f64_e64 v[22:23], v[32:33], -v[22:23]
	v_mul_f64_e32 v[32:33], v[36:37], v[112:113]
	s_delay_alu instid0(VALU_DEP_2) | instskip(NEXT) | instid1(VALU_DEP_2)
	v_fma_f64 v[22:23], v[22:23], s[8:9], -v[38:39]
	v_mul_f64_e32 v[32:33], v[122:123], v[32:33]
	s_delay_alu instid0(VALU_DEP_1) | instskip(NEXT) | instid1(VALU_DEP_1)
	v_mul_f64_e32 v[32:33], v[102:103], v[32:33]
	v_fma_f64 v[32:33], v[52:53], v[32:33], v[68:69]
	s_wait_loadcnt 0x0
	v_mul_f64_e32 v[84:85], v[166:167], v[12:13]
	scratch_load_b64 v[12:13], off, off offset:232 th:TH_LOAD_LU ; 8-byte Folded Reload
	v_fma_f64 v[2:3], v[2:3], v[28:29], v[84:85]
	scratch_load_b64 v[28:29], off, off offset:360 th:TH_LOAD_LU ; 8-byte Folded Reload
	s_wait_loadcnt 0x1
	v_fma_f64 v[24:25], v[162:163], v[12:13], v[78:79]
	scratch_load_b64 v[12:13], off, off offset:184 th:TH_LOAD_LU ; 8-byte Folded Reload
	v_add_f64_e64 v[24:25], v[24:25], -v[20:21]
	s_wait_loadcnt 0x0
	v_add_f64_e64 v[16:17], v[56:57], -v[12:13]
	scratch_load_b64 v[12:13], off, off offset:208 th:TH_LOAD_LU ; 8-byte Folded Reload
	v_mul_f64_e32 v[16:17], s[4:5], v[16:17]
	s_wait_loadcnt 0x0
	v_add_f64_e64 v[2:3], v[2:3], -v[12:13]
	scratch_load_b64 v[12:13], off, off offset:112 th:TH_LOAD_LU ; 8-byte Folded Reload
	v_mul_f64_e32 v[120:121], v[134:135], v[120:121]
	v_add_co_u32 v28, vcc_lo, s18, v28
	s_wait_alu 0xfffd
	v_add_co_ci_u32_e64 v29, null, s19, v29, vcc_lo
	v_fma_f64 v[2:3], v[2:3], s[8:9], -v[16:17]
	v_mul_f64_e32 v[16:17], v[44:45], v[114:115]
	v_mul_f64_e32 v[120:121], v[52:53], v[120:121]
	;; [unrolled: 1-line block ×4, first 2 shown]
	s_delay_alu instid0(VALU_DEP_4) | instskip(NEXT) | instid1(VALU_DEP_4)
	v_mul_f64_e32 v[16:17], v[132:133], v[16:17]
	v_fma_f64 v[120:121], v[110:111], v[128:129], v[120:121]
	scratch_load_b64 v[128:129], off, off offset:64 th:TH_LOAD_LU ; 8-byte Folded Reload
	v_mul_f64_e32 v[44:45], v[92:93], v[44:45]
	v_mul_f64_e32 v[49:50], v[92:93], v[49:50]
	;; [unrolled: 1-line block ×3, first 2 shown]
	s_delay_alu instid0(VALU_DEP_2) | instskip(NEXT) | instid1(VALU_DEP_2)
	v_mul_f64_e32 v[49:50], v[158:159], v[49:50]
	v_fma_f64 v[16:17], v[52:53], v[16:17], v[120:121]
	s_delay_alu instid0(VALU_DEP_1) | instskip(SKIP_1) | instid1(VALU_DEP_2)
	v_add_f64_e64 v[16:17], v[16:17], -v[30:31]
	v_mul_f64_e32 v[30:31], s[4:5], v[34:35]
	v_mul_f64_e32 v[16:17], s[4:5], v[16:17]
	s_delay_alu instid0(VALU_DEP_2) | instskip(SKIP_1) | instid1(VALU_DEP_1)
	v_fma_f64 v[24:25], v[24:25], s[8:9], -v[30:31]
	v_add_f64_e32 v[30:31], v[160:161], v[42:43]
	v_fma_f64 v[2:3], v[154:155], v[2:3], v[30:31]
	s_wait_loadcnt 0x1
	v_mul_f64_e32 v[12:13], s[4:5], v[12:13]
	s_delay_alu instid0(VALU_DEP_1)
	v_fma_f64 v[12:13], v[14:15], s[8:9], -v[12:13]
	scratch_load_b64 v[14:15], off, off offset:152 th:TH_LOAD_LU ; 8-byte Folded Reload
	global_load_b64 v[28:29], v[28:29], off
	s_clause 0x1
	scratch_load_b64 v[36:37], off, off offset:296 th:TH_LOAD_LU
	scratch_load_b64 v[56:57], off, off offset:40 th:TH_LOAD_LU
	s_wait_loadcnt 0x4
	v_mul_f64_e32 v[116:117], v[128:129], v[116:117]
	v_mul_f64_e32 v[80:81], v[128:129], v[80:81]
	;; [unrolled: 1-line block ×3, first 2 shown]
	s_delay_alu instid0(VALU_DEP_3) | instskip(NEXT) | instid1(VALU_DEP_3)
	v_mul_f64_e32 v[116:117], v[132:133], v[116:117]
	v_mul_f64_e32 v[80:81], v[132:133], v[80:81]
	s_delay_alu instid0(VALU_DEP_3) | instskip(NEXT) | instid1(VALU_DEP_3)
	v_mul_f64_e32 v[128:129], v[132:133], v[128:129]
	v_mul_f64_e32 v[109:110], v[110:111], v[116:117]
	;; [unrolled: 1-line block ×3, first 2 shown]
	s_delay_alu instid0(VALU_DEP_3) | instskip(NEXT) | instid1(VALU_DEP_3)
	v_mul_f64_e32 v[128:129], v[86:87], v[128:129]
	v_mul_f64_e32 v[109:110], v[134:135], v[109:110]
	s_delay_alu instid0(VALU_DEP_2) | instskip(NEXT) | instid1(VALU_DEP_2)
	v_fma_f64 v[116:117], v[134:135], v[116:117], v[128:129]
	v_mul_f64_e32 v[109:110], v[52:53], v[109:110]
	s_delay_alu instid0(VALU_DEP_1) | instskip(NEXT) | instid1(VALU_DEP_1)
	v_fma_f64 v[80:81], v[86:87], v[80:81], v[109:110]
	v_add_f64_e64 v[8:9], v[80:81], -v[8:9]
	s_delay_alu instid0(VALU_DEP_1)
	v_mul_f64_e32 v[8:9], s[4:5], v[8:9]
	s_wait_loadcnt 0x3
	v_mul_f64_e32 v[14:15], s[4:5], v[14:15]
	s_wait_loadcnt 0x1
	v_mul_f64_e32 v[36:37], v[36:37], v[28:29]
	s_wait_loadcnt 0x0
	v_mul_f64_e32 v[28:29], v[56:57], v[28:29]
	v_mul_f64_e32 v[46:47], v[56:57], v[90:91]
	;; [unrolled: 1-line block ×3, first 2 shown]
	v_fma_f64 v[14:15], v[88:89], s[8:9], -v[14:15]
	v_mul_f64_e32 v[36:37], v[92:93], v[36:37]
	v_mul_f64_e32 v[28:29], v[92:93], v[28:29]
	;; [unrolled: 1-line block ×4, first 2 shown]
	scratch_load_b64 v[56:57], off, off offset:616 th:TH_LOAD_LU ; 8-byte Folded Reload
	v_mul_f64_e32 v[36:37], v[156:157], v[36:37]
	v_mul_f64_e32 v[20:21], v[156:157], v[20:21]
	s_delay_alu instid0(VALU_DEP_2) | instskip(NEXT) | instid1(VALU_DEP_1)
	v_mul_f64_e32 v[36:37], v[6:7], v[36:37]
	v_mul_f64_e32 v[36:37], v[52:53], v[36:37]
	s_delay_alu instid0(VALU_DEP_1) | instskip(SKIP_2) | instid1(VALU_DEP_2)
	v_fma_f64 v[36:37], v[60:61], v[44:45], v[36:37]
	v_mul_f64_e32 v[44:45], v[60:61], v[28:29]
	v_mul_f64_e32 v[28:29], v[158:159], v[28:29]
	v_mul_f64_e32 v[44:45], v[6:7], v[44:45]
	s_delay_alu instid0(VALU_DEP_2) | instskip(SKIP_2) | instid1(VALU_DEP_4)
	v_fma_f64 v[6:7], v[6:7], v[28:29], v[20:21]
	v_add_f64_e64 v[20:21], v[116:117], -v[126:127]
	v_fma_f64 v[28:29], v[52:53], v[49:50], v[36:37]
	v_mul_f64_e32 v[44:45], v[52:53], v[44:45]
	s_delay_alu instid0(VALU_DEP_4) | instskip(NEXT) | instid1(VALU_DEP_4)
	v_add_f64_e64 v[6:7], v[6:7], -v[130:131]
	v_mul_f64_e32 v[20:21], s[4:5], v[20:21]
	s_delay_alu instid0(VALU_DEP_3) | instskip(SKIP_4) | instid1(VALU_DEP_2)
	v_fma_f64 v[44:45], v[156:157], v[46:47], v[44:45]
	scratch_load_b64 v[46:47], off, off offset:576 th:TH_LOAD_LU ; 8-byte Folded Reload
	v_add_f64_e64 v[10:11], v[44:45], -v[10:11]
	s_wait_loadcnt 0x1
	v_add_f64_e32 v[56:57], v[56:57], v[62:63]
	v_fma_f64 v[8:9], v[10:11], s[8:9], -v[8:9]
	s_delay_alu instid0(VALU_DEP_2) | instskip(NEXT) | instid1(VALU_DEP_1)
	v_add_f64_e32 v[14:15], v[56:57], v[14:15]
	v_add_f64_e32 v[14:15], v[26:27], v[14:15]
	s_delay_alu instid0(VALU_DEP_1) | instskip(SKIP_2) | instid1(VALU_DEP_1)
	v_add_f64_e32 v[14:15], v[14:15], v[22:23]
	s_wait_loadcnt 0x0
	v_add_f64_e32 v[40:41], v[46:47], v[40:41]
	v_add_f64_e32 v[12:13], v[40:41], v[12:13]
	s_delay_alu instid0(VALU_DEP_1) | instskip(SKIP_1) | instid1(VALU_DEP_2)
	v_add_f64_e32 v[12:13], v[18:19], v[12:13]
	v_add_f64_e64 v[18:19], v[28:29], -v[32:33]
	v_fma_f64 v[12:13], v[154:155], v[24:25], v[12:13]
	s_delay_alu instid0(VALU_DEP_2) | instskip(SKIP_1) | instid1(VALU_DEP_3)
	v_fma_f64 v[10:11], v[18:19], s[8:9], -v[16:17]
	v_fma_f64 v[16:17], v[6:7], s[8:9], -v[20:21]
	v_add_f64_e32 v[8:9], v[12:13], v[8:9]
	s_delay_alu instid0(VALU_DEP_3) | instskip(NEXT) | instid1(VALU_DEP_3)
	v_add_f64_e32 v[6:7], v[14:15], v[10:11]
	v_fma_f64 v[2:3], v[52:53], v[16:17], v[2:3]
	v_subrev_nc_u32_e32 v10, s26, v191
	v_subrev_nc_u32_e32 v11, s26, v55
	;; [unrolled: 1-line block ×4, first 2 shown]
.LBB0_10:                               ; =>This Inner Loop Header: Depth=1
	s_delay_alu instid0(VALU_DEP_1) | instskip(NEXT) | instid1(VALU_DEP_3)
	v_add_nc_u32_e32 v14, s33, v13
	v_add_nc_u32_e32 v22, s33, v12
	;; [unrolled: 1-line block ×5, first 2 shown]
	v_ashrrev_i32_e32 v15, 31, v14
	v_ashrrev_i32_e32 v23, 31, v22
	;; [unrolled: 1-line block ×3, first 2 shown]
	v_add_nc_u32_e32 v40, s33, v98
	v_add_nc_u32_e32 v56, s33, v83
	v_lshlrev_b64_e32 v[26:27], 3, v[14:15]
	v_lshlrev_b64_e32 v[70:71], 3, v[22:23]
	;; [unrolled: 1-line block ×3, first 2 shown]
	v_add_nc_u32_e32 v42, s33, v82
	v_add_nc_u32_e32 v62, s33, v100
	v_ashrrev_i32_e32 v39, 31, v38
	v_add_co_u32 v18, vcc_lo, s12, v26
	s_wait_alu 0xfffd
	v_add_co_ci_u32_e64 v19, null, s13, v27, vcc_lo
	v_add_co_u32 v22, vcc_lo, s14, v70
	s_wait_alu 0xfffd
	v_add_co_ci_u32_e64 v23, null, s15, v71, vcc_lo
	s_clause 0x1
	global_load_b128 v[14:17], v[18:19], off offset:8
	global_load_b128 v[18:21], v[18:19], off offset:-16
	v_add_co_u32 v24, vcc_lo, s16, v70
	s_wait_alu 0xfffd
	v_add_co_ci_u32_e64 v25, null, s17, v71, vcc_lo
	v_add_co_u32 v50, vcc_lo, s18, v26
	s_wait_alu 0xfffd
	v_add_co_ci_u32_e64 v51, null, s19, v27, vcc_lo
	;; [unrolled: 3-line block ×4, first 2 shown]
	global_load_b64 v[74:75], v[22:23], off
	global_load_b64 v[76:77], v[24:25], off
	s_clause 0x3
	global_load_b128 v[22:25], v[26:27], off offset:8
	global_load_b128 v[26:29], v[26:27], off offset:-16
	global_load_b128 v[30:33], v[34:35], off offset:8
	global_load_b128 v[34:37], v[34:35], off offset:-16
	global_load_b64 v[78:79], v[50:51], off
	v_add_co_u32 v70, vcc_lo, s18, v70
	s_wait_alu 0xfffd
	v_add_co_ci_u32_e64 v71, null, s19, v71, vcc_lo
	v_ashrrev_i32_e32 v50, 31, v49
	v_add_nc_u32_e32 v64, s33, v106
	v_ashrrev_i32_e32 v41, 31, v40
	global_load_b64 v[70:71], v[70:71], off
	v_ashrrev_i32_e32 v57, 31, v56
	v_ashrrev_i32_e32 v43, 31, v42
	;; [unrolled: 1-line block ×3, first 2 shown]
	v_lshlrev_b64_e32 v[38:39], 3, v[38:39]
	v_lshlrev_b64_e32 v[49:50], 3, v[49:50]
	v_ashrrev_i32_e32 v65, 31, v64
	v_lshlrev_b64_e32 v[40:41], 3, v[40:41]
	v_lshlrev_b64_e32 v[56:57], 3, v[56:57]
	v_lshlrev_b64_e32 v[42:43], 3, v[42:43]
	v_lshlrev_b64_e32 v[62:63], 3, v[62:63]
	v_add_co_u32 v72, vcc_lo, s18, v72
	v_lshlrev_b64_e32 v[64:65], 3, v[64:65]
	s_wait_alu 0xfffd
	v_add_co_ci_u32_e64 v73, null, s19, v73, vcc_lo
	v_add_co_u32 v38, vcc_lo, s18, v38
	v_add_co_u32 v49, s2, s12, v49
	s_wait_alu 0xfffd
	v_add_co_ci_u32_e64 v39, null, s19, v39, vcc_lo
	v_add_co_u32 v40, vcc_lo, s12, v40
	s_wait_alu 0xf1ff
	v_add_co_ci_u32_e64 v50, null, s13, v50, s2
	v_add_co_u32 v56, s2, s12, v56
	s_wait_alu 0xfffd
	v_add_co_ci_u32_e64 v41, null, s13, v41, vcc_lo
	v_add_co_u32 v42, vcc_lo, s12, v42
	s_wait_alu 0xf1ff
	v_add_co_ci_u32_e64 v57, null, s13, v57, s2
	v_add_co_u32 v62, s2, s12, v62
	s_wait_alu 0xfffd
	v_add_co_ci_u32_e64 v43, null, s13, v43, vcc_lo
	s_wait_alu 0xf1ff
	v_add_co_ci_u32_e64 v63, null, s13, v63, s2
	v_add_co_u32 v64, s2, s12, v64
	s_wait_alu 0xf1ff
	v_add_co_ci_u32_e64 v65, null, s13, v65, s2
	global_load_b64 v[72:73], v[72:73], off
	s_clause 0x5
	global_load_b64 v[40:41], v[40:41], off
	global_load_b64 v[42:43], v[42:43], off
	global_load_b64 v[49:50], v[49:50], off
	global_load_b64 v[56:57], v[56:57], off
	global_load_b64 v[62:63], v[62:63], off
	global_load_b64 v[64:65], v[64:65], off
	v_add_nc_u32_e32 v44, s33, v95
	v_add_nc_u32_e32 v46, s33, v101
	;; [unrolled: 1-line block ×5, first 2 shown]
	v_ashrrev_i32_e32 v45, 31, v44
	v_ashrrev_i32_e32 v47, 31, v46
	;; [unrolled: 1-line block ×3, first 2 shown]
	v_add_nc_u32_e32 v68, s33, v105
	v_ashrrev_i32_e32 v61, 31, v60
	v_lshlrev_b64_e32 v[44:45], 3, v[44:45]
	v_lshlrev_b64_e32 v[46:47], 3, v[46:47]
	v_ashrrev_i32_e32 v67, 31, v66
	v_lshlrev_b64_e32 v[58:59], 3, v[58:59]
	v_ashrrev_i32_e32 v69, 31, v68
	v_lshlrev_b64_e32 v[60:61], 3, v[60:61]
	v_add_co_u32 v44, vcc_lo, s12, v44
	v_lshlrev_b64_e32 v[66:67], 3, v[66:67]
	s_wait_alu 0xfffd
	v_add_co_ci_u32_e64 v45, null, s13, v45, vcc_lo
	v_add_co_u32 v46, vcc_lo, s12, v46
	v_lshlrev_b64_e32 v[68:69], 3, v[68:69]
	s_wait_alu 0xfffd
	v_add_co_ci_u32_e64 v47, null, s13, v47, vcc_lo
	v_add_co_u32 v58, vcc_lo, s12, v58
	s_wait_alu 0xfffd
	v_add_co_ci_u32_e64 v59, null, s13, v59, vcc_lo
	v_add_co_u32 v60, vcc_lo, s12, v60
	;; [unrolled: 3-line block ×4, first 2 shown]
	s_wait_alu 0xfffd
	v_add_co_ci_u32_e64 v69, null, s13, v69, vcc_lo
	global_load_b64 v[38:39], v[38:39], off
	s_clause 0x5
	global_load_b64 v[44:45], v[44:45], off
	global_load_b64 v[46:47], v[46:47], off
	;; [unrolled: 1-line block ×6, first 2 shown]
	v_add_nc_u32_e32 v101, s21, v101
	v_add_nc_u32_e32 v104, s21, v104
	;; [unrolled: 1-line block ×16, first 2 shown]
	s_wait_loadcnt 0x16
	v_add_f64_e64 v[16:17], v[16:17], -v[18:19]
	v_add_f64_e64 v[14:15], v[14:15], -v[20:21]
	s_wait_loadcnt 0x14
	v_fma_f64 v[18:19], v[74:75], 2.0, v[76:77]
	s_wait_loadcnt 0x12
	v_add_f64_e64 v[24:25], v[24:25], -v[26:27]
	v_add_f64_e64 v[22:23], v[22:23], -v[28:29]
	s_wait_loadcnt 0x10
	v_add_f64_e64 v[20:21], v[32:33], -v[34:35]
	v_add_nc_u32_e32 v32, s3, v48
	s_wait_loadcnt 0xf
	v_mul_f64_e32 v[26:27], v[74:75], v[78:79]
	v_add_f64_e64 v[28:29], v[30:31], -v[36:37]
	s_add_co_i32 s3, s3, 6
	v_ashrrev_i32_e32 v33, 31, v32
	s_wait_alu 0xfffe
	s_cmp_eq_u32 s3, 47
	s_delay_alu instid0(VALU_DEP_1) | instskip(NEXT) | instid1(VALU_DEP_1)
	v_lshlrev_b64_e32 v[32:33], 3, v[32:33]
	v_add_co_u32 v32, vcc_lo, s10, v32
	s_wait_alu 0xfffd
	s_delay_alu instid0(VALU_DEP_2)
	v_add_co_ci_u32_e64 v33, null, s11, v33, vcc_lo
	v_mul_f64_e32 v[16:17], s[4:5], v[16:17]
	global_load_b64 v[32:33], v[32:33], off
	v_mul_f64_e32 v[30:31], v[18:19], v[78:79]
	v_mul_f64_e32 v[24:25], s[4:5], v[24:25]
	;; [unrolled: 1-line block ×3, first 2 shown]
	s_wait_loadcnt 0xf
	v_mul_f64_e32 v[26:27], v[26:27], v[70:71]
	s_wait_loadcnt 0xe
	v_mul_f64_e32 v[36:37], v[74:75], v[72:73]
	v_mul_f64_e32 v[18:19], v[18:19], v[72:73]
	s_wait_loadcnt 0xa
	v_add_f64_e64 v[34:35], v[49:50], -v[56:57]
	v_fma_f64 v[14:15], v[14:15], s[8:9], -v[16:17]
	v_add_f64_e64 v[16:17], v[40:41], -v[42:43]
	s_wait_loadcnt 0x8
	v_add_f64_e64 v[40:41], v[62:63], -v[64:65]
	v_mul_f64_e32 v[30:31], v[30:31], v[70:71]
	v_fma_f64 v[22:23], v[22:23], s[8:9], -v[24:25]
	v_fma_f64 v[20:21], v[28:29], s[8:9], -v[20:21]
	v_mul_f64_e32 v[36:37], v[70:71], v[36:37]
	v_mul_f64_e32 v[18:19], v[70:71], v[18:19]
	v_mul_f64_e32 v[34:35], s[4:5], v[34:35]
	s_wait_loadcnt 0x7
	v_mul_f64_e32 v[28:29], v[74:75], v[38:39]
	v_mul_f64_e32 v[38:39], v[76:77], v[38:39]
	s_wait_loadcnt 0x5
	v_add_f64_e64 v[42:43], v[44:45], -v[46:47]
	v_mul_f64_e32 v[46:47], v[76:77], v[72:73]
	s_wait_loadcnt 0x3
	v_add_f64_e64 v[44:45], v[58:59], -v[60:61]
	s_wait_loadcnt 0x1
	v_add_f64_e64 v[49:50], v[66:67], -v[68:69]
	v_mul_f64_e32 v[24:25], v[26:27], v[14:15]
	v_mul_f64_e32 v[16:17], s[4:5], v[16:17]
	;; [unrolled: 1-line block ×9, first 2 shown]
	v_fma_f64 v[34:35], v[44:45], s[8:9], -v[34:35]
	v_mul_f64_e32 v[24:25], v[0:1], v[24:25]
	v_fma_f64 v[16:17], v[42:43], s[8:9], -v[16:17]
	v_fma_f64 v[40:41], v[49:50], s[8:9], -v[40:41]
	v_mul_f64_e32 v[30:31], v[0:1], v[30:31]
	v_mul_f64_e32 v[42:43], v[0:1], v[56:57]
	;; [unrolled: 1-line block ×8, first 2 shown]
	v_fma_f64 v[14:15], v[154:155], v[30:31], v[14:15]
	v_mul_f64_e32 v[30:31], v[154:155], v[42:43]
	v_mul_f64_e32 v[18:19], v[4:5], v[18:19]
	v_fma_f64 v[22:23], v[46:47], v[22:23], v[24:25]
	v_mul_f64_e32 v[24:25], v[76:77], v[78:79]
	v_mul_f64_e32 v[42:43], v[4:5], v[44:45]
	;; [unrolled: 1-line block ×3, first 2 shown]
	v_fma_f64 v[14:15], v[154:155], v[20:21], v[14:15]
	v_fma_f64 v[20:21], v[154:155], v[49:50], v[30:31]
	;; [unrolled: 1-line block ×3, first 2 shown]
	v_mul_f64_e32 v[22:23], v[24:25], v[70:71]
	v_mul_f64_e32 v[24:25], v[28:29], v[40:41]
	;; [unrolled: 1-line block ×3, first 2 shown]
	v_fma_f64 v[14:15], v[52:53], v[42:43], v[14:15]
	v_fma_f64 v[20:21], v[52:53], v[36:37], v[20:21]
	;; [unrolled: 1-line block ×3, first 2 shown]
	s_delay_alu instid0(VALU_DEP_3) | instskip(NEXT) | instid1(VALU_DEP_3)
	v_fma_f64 v[14:15], v[22:23], v[34:35], v[14:15]
	v_fma_f64 v[18:19], v[52:53], v[26:27], v[20:21]
	s_delay_alu instid0(VALU_DEP_3) | instskip(SKIP_1) | instid1(VALU_DEP_3)
	v_fma_f64 v[16:17], v[52:53], v[24:25], v[16:17]
	s_wait_loadcnt 0x0
	v_fma_f64 v[8:9], v[32:33], v[14:15], v[8:9]
	s_delay_alu instid0(VALU_DEP_3) | instskip(NEXT) | instid1(VALU_DEP_3)
	v_fma_f64 v[2:3], v[32:33], v[18:19], v[2:3]
	v_fma_f64 v[6:7], v[32:33], v[16:17], v[6:7]
	s_cbranch_scc0 .LBB0_10
; %bb.11:
	s_clause 0x1
	scratch_load_b64 v[20:21], off, off offset:8 th:TH_LOAD_LU
	scratch_load_b64 v[10:11], off, off offset:16 th:TH_LOAD_LU
	v_mul_f64_e32 v[0:1], v[0:1], v[4:5]
	s_load_b128 s[0:3], s[0:1], 0x30
	s_wait_kmcnt 0x0
	v_mul_f64_e32 v[8:9], s[2:3], v[8:9]
	v_mul_f64_e32 v[6:7], s[2:3], v[6:7]
	;; [unrolled: 1-line block ×3, first 2 shown]
	s_wait_loadcnt 0x1
	s_delay_alu instid0(VALU_DEP_4)
	v_div_scale_f64 v[4:5], null, v[20:21], v[20:21], v[0:1]
	s_wait_loadcnt 0x0
	v_add_co_u32 v10, vcc_lo, s6, v10
	s_wait_alu 0xfffd
	v_add_co_ci_u32_e64 v11, null, s7, v11, vcc_lo
	v_div_scale_f64 v[18:19], vcc_lo, v[0:1], v[20:21], v[0:1]
	global_load_b64 v[12:13], v[10:11], off
	v_rcp_f64_e32 v[14:15], v[4:5]
	s_delay_alu instid0(TRANS32_DEP_1) | instskip(NEXT) | instid1(VALU_DEP_1)
	v_fma_f64 v[16:17], -v[4:5], v[14:15], 1.0
	v_fma_f64 v[14:15], v[14:15], v[16:17], v[14:15]
	s_delay_alu instid0(VALU_DEP_1) | instskip(NEXT) | instid1(VALU_DEP_1)
	v_fma_f64 v[16:17], -v[4:5], v[14:15], 1.0
	v_fma_f64 v[14:15], v[14:15], v[16:17], v[14:15]
	s_delay_alu instid0(VALU_DEP_1) | instskip(NEXT) | instid1(VALU_DEP_1)
	v_mul_f64_e32 v[16:17], v[18:19], v[14:15]
	v_fma_f64 v[4:5], -v[4:5], v[16:17], v[18:19]
	s_wait_alu 0xfffd
	s_delay_alu instid0(VALU_DEP_1) | instskip(SKIP_2) | instid1(VALU_DEP_2)
	v_div_fmas_f64 v[4:5], v[4:5], v[14:15], v[16:17]
	s_wait_loadcnt 0x0
	v_mul_f64_e32 v[12:13], s[0:1], v[12:13]
	v_div_fixup_f64 v[0:1], v[4:5], v[20:21], v[0:1]
	s_delay_alu instid0(VALU_DEP_1)
	v_fma_f64 v[4:5], v[0:1], v[8:9], v[12:13]
	scratch_load_b64 v[8:9], off, off offset:168 th:TH_LOAD_LU ; 8-byte Folded Reload
	global_store_b64 v[10:11], v[4:5], off
	s_wait_loadcnt 0x0
	v_add_co_u32 v8, vcc_lo, s6, v8
	s_wait_alu 0xfffd
	v_add_co_ci_u32_e64 v9, null, s7, v9, vcc_lo
	global_load_b64 v[4:5], v[8:9], off
	s_wait_loadcnt 0x0
	v_mul_f64_e32 v[4:5], s[0:1], v[4:5]
	s_delay_alu instid0(VALU_DEP_1)
	v_fma_f64 v[4:5], v[0:1], v[6:7], v[4:5]
	scratch_load_b64 v[6:7], off, off offset:256 th:TH_LOAD_LU ; 8-byte Folded Reload
	global_store_b64 v[8:9], v[4:5], off
	s_wait_loadcnt 0x0
	v_add_co_u32 v6, vcc_lo, s6, v6
	s_wait_alu 0xfffd
	v_add_co_ci_u32_e64 v7, null, s7, v7, vcc_lo
	global_load_b64 v[4:5], v[6:7], off
	s_wait_loadcnt 0x0
	v_mul_f64_e32 v[4:5], s[0:1], v[4:5]
	s_delay_alu instid0(VALU_DEP_1)
	v_fma_f64 v[0:1], v[0:1], v[2:3], v[4:5]
	global_store_b64 v[6:7], v[0:1], off
.LBB0_12:
	s_nop 0
	s_sendmsg sendmsg(MSG_DEALLOC_VGPRS)
	s_endpgm
	.section	.rodata,"a",@progbits
	.p2align	6, 0x0
	.amdhsa_kernel _Z7kernel1iiiiiiiiiiiiddPKdS0_S0_S0_S0_PdS0_S0_S0_S0_S0_S0_S0_
		.amdhsa_group_segment_fixed_size 0
		.amdhsa_private_segment_fixed_size 660
		.amdhsa_kernarg_size 424
		.amdhsa_user_sgpr_count 2
		.amdhsa_user_sgpr_dispatch_ptr 0
		.amdhsa_user_sgpr_queue_ptr 0
		.amdhsa_user_sgpr_kernarg_segment_ptr 1
		.amdhsa_user_sgpr_dispatch_id 0
		.amdhsa_user_sgpr_private_segment_size 0
		.amdhsa_wavefront_size32 1
		.amdhsa_uses_dynamic_stack 0
		.amdhsa_enable_private_segment 1
		.amdhsa_system_sgpr_workgroup_id_x 1
		.amdhsa_system_sgpr_workgroup_id_y 1
		.amdhsa_system_sgpr_workgroup_id_z 1
		.amdhsa_system_sgpr_workgroup_info 0
		.amdhsa_system_vgpr_workitem_id 2
		.amdhsa_next_free_vgpr 192
		.amdhsa_next_free_sgpr 44
		.amdhsa_reserve_vcc 1
		.amdhsa_float_round_mode_32 0
		.amdhsa_float_round_mode_16_64 0
		.amdhsa_float_denorm_mode_32 3
		.amdhsa_float_denorm_mode_16_64 3
		.amdhsa_fp16_overflow 0
		.amdhsa_workgroup_processor_mode 1
		.amdhsa_memory_ordered 1
		.amdhsa_forward_progress 1
		.amdhsa_inst_pref_size 134
		.amdhsa_round_robin_scheduling 0
		.amdhsa_exception_fp_ieee_invalid_op 0
		.amdhsa_exception_fp_denorm_src 0
		.amdhsa_exception_fp_ieee_div_zero 0
		.amdhsa_exception_fp_ieee_overflow 0
		.amdhsa_exception_fp_ieee_underflow 0
		.amdhsa_exception_fp_ieee_inexact 0
		.amdhsa_exception_int_div_zero 0
	.end_amdhsa_kernel
	.text
.Lfunc_end0:
	.size	_Z7kernel1iiiiiiiiiiiiddPKdS0_S0_S0_S0_PdS0_S0_S0_S0_S0_S0_S0_, .Lfunc_end0-_Z7kernel1iiiiiiiiiiiiddPKdS0_S0_S0_S0_PdS0_S0_S0_S0_S0_S0_S0_
                                        ; -- End function
	.set _Z7kernel1iiiiiiiiiiiiddPKdS0_S0_S0_S0_PdS0_S0_S0_S0_S0_S0_S0_.num_vgpr, 192
	.set _Z7kernel1iiiiiiiiiiiiddPKdS0_S0_S0_S0_PdS0_S0_S0_S0_S0_S0_S0_.num_agpr, 0
	.set _Z7kernel1iiiiiiiiiiiiddPKdS0_S0_S0_S0_PdS0_S0_S0_S0_S0_S0_S0_.numbered_sgpr, 44
	.set _Z7kernel1iiiiiiiiiiiiddPKdS0_S0_S0_S0_PdS0_S0_S0_S0_S0_S0_S0_.num_named_barrier, 0
	.set _Z7kernel1iiiiiiiiiiiiddPKdS0_S0_S0_S0_PdS0_S0_S0_S0_S0_S0_S0_.private_seg_size, 660
	.set _Z7kernel1iiiiiiiiiiiiddPKdS0_S0_S0_S0_PdS0_S0_S0_S0_S0_S0_S0_.uses_vcc, 1
	.set _Z7kernel1iiiiiiiiiiiiddPKdS0_S0_S0_S0_PdS0_S0_S0_S0_S0_S0_S0_.uses_flat_scratch, 1
	.set _Z7kernel1iiiiiiiiiiiiddPKdS0_S0_S0_S0_PdS0_S0_S0_S0_S0_S0_S0_.has_dyn_sized_stack, 0
	.set _Z7kernel1iiiiiiiiiiiiddPKdS0_S0_S0_S0_PdS0_S0_S0_S0_S0_S0_S0_.has_recursion, 0
	.set _Z7kernel1iiiiiiiiiiiiddPKdS0_S0_S0_S0_PdS0_S0_S0_S0_S0_S0_S0_.has_indirect_call, 0
	.section	.AMDGPU.csdata,"",@progbits
; Kernel info:
; codeLenInByte = 17044
; TotalNumSgprs: 46
; NumVgprs: 192
; ScratchSize: 660
; MemoryBound: 0
; FloatMode: 240
; IeeeMode: 1
; LDSByteSize: 0 bytes/workgroup (compile time only)
; SGPRBlocks: 0
; VGPRBlocks: 23
; NumSGPRsForWavesPerEU: 46
; NumVGPRsForWavesPerEU: 192
; Occupancy: 8
; WaveLimiterHint : 0
; COMPUTE_PGM_RSRC2:SCRATCH_EN: 1
; COMPUTE_PGM_RSRC2:USER_SGPR: 2
; COMPUTE_PGM_RSRC2:TRAP_HANDLER: 0
; COMPUTE_PGM_RSRC2:TGID_X_EN: 1
; COMPUTE_PGM_RSRC2:TGID_Y_EN: 1
; COMPUTE_PGM_RSRC2:TGID_Z_EN: 1
; COMPUTE_PGM_RSRC2:TIDIG_COMP_CNT: 2
	.text
	.protected	_Z7kernel2iiiiiiiiiiiiddPKdS0_S0_S0_S0_PdS0_S0_S0_S0_S0_S0_S0_ ; -- Begin function _Z7kernel2iiiiiiiiiiiiddPKdS0_S0_S0_S0_PdS0_S0_S0_S0_S0_S0_S0_
	.globl	_Z7kernel2iiiiiiiiiiiiddPKdS0_S0_S0_S0_PdS0_S0_S0_S0_S0_S0_S0_
	.p2align	8
	.type	_Z7kernel2iiiiiiiiiiiiddPKdS0_S0_S0_S0_PdS0_S0_S0_S0_S0_S0_S0_,@function
_Z7kernel2iiiiiiiiiiiiddPKdS0_S0_S0_S0_PdS0_S0_S0_S0_S0_S0_S0_: ; @_Z7kernel2iiiiiiiiiiiiddPKdS0_S0_S0_S0_PdS0_S0_S0_S0_S0_S0_S0_
; %bb.0:
	s_clause 0x1
	s_load_b64 s[2:3], s[0:1], 0xb4
	s_load_b256 s[16:23], s[0:1], 0x0
	v_and_b32_e32 v1, 0x3ff, v0
	v_bfe_u32 v2, v0, 10, 10
	s_and_b32 s4, ttmp7, 0xffff
	v_bfe_u32 v0, v0, 20, 10
	s_lshr_b32 s5, ttmp7, 16
	s_wait_kmcnt 0x0
	s_and_b32 s6, s2, 0xffff
	s_lshr_b32 s2, s2, 16
	s_and_b32 s3, s3, 0xffff
	s_mul_i32 s6, ttmp9, s6
	s_mul_i32 s4, s4, s2
	s_mul_i32 s5, s5, s3
	v_add3_u32 v164, s6, s16, v1
	v_add3_u32 v48, s4, s18, v2
	;; [unrolled: 1-line block ×3, first 2 shown]
	s_delay_alu instid0(VALU_DEP_3) | instskip(NEXT) | instid1(VALU_DEP_3)
	v_cmp_gt_i32_e32 vcc_lo, s17, v164
	v_cmp_gt_i32_e64 s2, s19, v48
	s_delay_alu instid0(VALU_DEP_3) | instskip(SKIP_1) | instid1(SALU_CYCLE_1)
	v_cmp_gt_i32_e64 s3, s21, v14
	s_and_b32 s2, vcc_lo, s2
	s_and_b32 s2, s2, s3
	s_delay_alu instid0(SALU_CYCLE_1)
	s_and_saveexec_b32 s3, s2
	s_cbranch_execz .LBB1_2
; %bb.1:
	s_load_b256 s[4:11], s[0:1], 0x20
	s_sub_co_i32 s2, s23, s22
	v_add_nc_u32_e32 v0, -2, v14
	s_add_co_i32 s3, s2, 1
	s_not_b32 s2, s2
	v_mul_lo_u32 v54, v48, s3
	s_load_b128 s[24:27], s[0:1], 0x98
	v_add_nc_u32_e32 v68, -1, v164
	v_add_nc_u32_e32 v69, 1, v164
	v_add_nc_u32_e32 v183, -2, v164
	s_wait_kmcnt 0x0
	s_sub_co_i32 s5, s5, s4
	s_mul_i32 s2, s4, s2
	s_wait_alu 0xfffe
	s_add_co_i32 s5, s5, 1
	s_wait_alu 0xfffe
	s_mul_i32 s5, s5, s3
	s_wait_alu 0xfffe
	s_mul_i32 s12, s5, s6
	v_mul_lo_u32 v3, v0, s5
	s_add_co_i32 s12, s22, s12
	v_mul_lo_u32 v184, v14, s5
	s_sub_co_i32 s21, s2, s12
	s_load_b256 s[12:19], s[0:1], 0x40
	v_add_nc_u32_e32 v74, s21, v164
	s_delay_alu instid0(VALU_DEP_3) | instskip(NEXT) | instid1(VALU_DEP_2)
	v_add_nc_u32_e32 v2, s5, v3
	v_add_nc_u32_e32 v56, v54, v74
	s_delay_alu instid0(VALU_DEP_4) | instskip(NEXT) | instid1(VALU_DEP_2)
	v_add3_u32 v27, v184, v54, s21
	v_add_nc_u32_e32 v0, v3, v56
	s_delay_alu instid0(VALU_DEP_1) | instskip(NEXT) | instid1(VALU_DEP_1)
	v_ashrrev_i32_e32 v1, 31, v0
	v_lshlrev_b64_e32 v[0:1], 3, v[0:1]
	s_wait_kmcnt 0x0
	s_delay_alu instid0(VALU_DEP_1) | instskip(SKIP_2) | instid1(VALU_DEP_4)
	v_add_co_u32 v4, vcc_lo, s14, v0
	v_add_co_u32 v6, s2, s16, v0
	v_add_nc_u32_e32 v0, v2, v56
	v_add_co_ci_u32_e64 v5, null, s15, v1, vcc_lo
	s_wait_alu 0xf1ff
	v_add_co_ci_u32_e64 v7, null, s17, v1, s2
	s_delay_alu instid0(VALU_DEP_3) | instskip(SKIP_3) | instid1(VALU_DEP_1)
	v_ashrrev_i32_e32 v1, 31, v0
	s_sub_co_i32 s2, s7, s6
	s_wait_alu 0xfffe
	s_add_co_i32 s6, s2, 1
	v_lshlrev_b64_e32 v[0:1], 3, v[0:1]
	s_wait_alu 0xfffe
	s_mul_i32 s6, s6, s5
	s_wait_alu 0xfffe
	s_sub_co_i32 s7, s21, s6
	s_wait_alu 0xfffe
	v_dual_mov_b32 v12, v3 :: v_dual_add_nc_u32 v75, s7, v164
	v_add_co_u32 v8, vcc_lo, s14, v0
	s_wait_alu 0xfffd
	v_add_co_ci_u32_e64 v9, null, s15, v1, vcc_lo
	v_add_co_u32 v10, vcc_lo, s16, v0
	s_wait_alu 0xfffd
	v_add_co_ci_u32_e64 v11, null, s17, v1, vcc_lo
	v_lshl_add_u32 v1, s5, 1, v2
	v_add_nc_u32_e32 v57, v54, v75
	scratch_store_b32 off, v12, off offset:252 ; 4-byte Folded Spill
	v_mov_b32_e32 v16, v2
	s_lshl_b32 s20, s6, 1
	v_mov_b32_e32 v28, v1
	v_add_nc_u32_e32 v12, v12, v57
	v_add_nc_u32_e32 v0, v1, v56
	scratch_store_b32 off, v16, off offset:96 ; 4-byte Folded Spill
	v_mov_b32_e32 v136, v28
	scratch_store_b32 off, v12, off offset:80 ; 4-byte Folded Spill
	global_load_b64 v[96:97], v[4:5], off
	global_load_b64 v[86:87], v[6:7], off
	;; [unrolled: 1-line block ×3, first 2 shown]
	s_wait_alu 0xfffe
	v_add_nc_u32_e32 v12, s20, v12
	v_ashrrev_i32_e32 v1, 31, v0
	v_add_nc_u32_e32 v4, v56, v184
	s_delay_alu instid0(VALU_DEP_3) | instskip(NEXT) | instid1(VALU_DEP_3)
	v_ashrrev_i32_e32 v13, 31, v12
	v_lshlrev_b64_e32 v[2:3], 3, v[0:1]
	s_delay_alu instid0(VALU_DEP_3) | instskip(NEXT) | instid1(VALU_DEP_3)
	v_ashrrev_i32_e32 v5, 31, v4
	v_lshlrev_b64_e32 v[17:18], 3, v[12:13]
	v_add_nc_u32_e32 v13, v57, v184
	v_add_nc_u32_e32 v182, v16, v57
	v_add_co_u32 v0, vcc_lo, s14, v2
	s_wait_alu 0xfffd
	v_add_co_ci_u32_e64 v1, null, s15, v3, vcc_lo
	v_add_nc_u32_e32 v14, s20, v13
	v_add_co_u32 v2, vcc_lo, s16, v2
	v_add_nc_u32_e32 v21, s20, v182
	s_wait_alu 0xfffd
	v_add_co_ci_u32_e64 v3, null, s17, v3, vcc_lo
	v_ashrrev_i32_e32 v15, 31, v14
	v_add_co_u32 v19, vcc_lo, s18, v17
	s_wait_alu 0xfffd
	v_add_co_ci_u32_e64 v20, null, s19, v18, vcc_lo
	v_add_co_u32 v124, vcc_lo, s12, v17
	v_ashrrev_i32_e32 v22, 31, v21
	s_wait_alu 0xfffd
	v_add_co_ci_u32_e64 v125, null, s13, v18, vcc_lo
	v_lshlrev_b64_e32 v[17:18], 3, v[14:15]
	v_lshlrev_b64_e32 v[112:113], 3, v[4:5]
	;; [unrolled: 1-line block ×3, first 2 shown]
	v_add_nc_u32_e32 v16, v28, v57
	v_add_nc_u32_e32 v8, s6, v21
	v_add_co_u32 v170, vcc_lo, s18, v17
	s_wait_alu 0xfffd
	v_add_co_ci_u32_e64 v171, null, s19, v18, vcc_lo
	v_add_co_u32 v17, vcc_lo, s12, v17
	s_wait_alu 0xfffd
	v_add_co_ci_u32_e64 v18, null, s13, v18, vcc_lo
	;; [unrolled: 3-line block ×6, first 2 shown]
	v_ashrrev_i32_e32 v9, 31, v8
	s_wait_loadcnt 0x0
	scratch_store_b64 off, v[36:37], off offset:8 ; 8-byte Folded Spill
	global_load_b64 v[180:181], v[19:20], off
	global_load_b64 v[92:93], v[10:11], off
	;; [unrolled: 1-line block ×4, first 2 shown]
	v_add_nc_u32_e32 v4, s20, v16
	global_load_b64 v[52:53], v[6:7], off
	v_add_nc_u32_e32 v6, s6, v12
	v_add_nc_u32_e32 v10, s6, v14
	scratch_store_b32 off, v136, off offset:356 ; 4-byte Folded Spill
	v_ashrrev_i32_e32 v5, 31, v4
	v_lshlrev_b64_e32 v[19:20], 3, v[8:9]
	v_ashrrev_i32_e32 v7, 31, v6
	v_ashrrev_i32_e32 v11, 31, v10
	v_add_nc_u32_e32 v9, s6, v10
	v_lshlrev_b64_e32 v[28:29], 3, v[4:5]
	v_add_nc_u32_e32 v4, s6, v4
	s_delay_alu instid0(VALU_DEP_4) | instskip(NEXT) | instid1(VALU_DEP_4)
	v_lshlrev_b64_e32 v[11:12], 3, v[10:11]
	v_ashrrev_i32_e32 v10, 31, v9
	s_delay_alu instid0(VALU_DEP_4)
	v_add_co_u32 v14, vcc_lo, s18, v28
	s_wait_alu 0xfffd
	v_add_co_ci_u32_e64 v15, null, s19, v29, vcc_lo
	v_ashrrev_i32_e32 v5, 31, v4
	v_lshlrev_b64_e32 v[9:10], 3, v[9:10]
	s_wait_loadcnt 0x1
	scratch_store_b64 off, v[38:39], off    ; 8-byte Folded Spill
	global_load_b64 v[100:101], v[0:1], off
	global_load_b64 v[94:95], v[2:3], off
	;; [unrolled: 1-line block ×3, first 2 shown]
	v_lshlrev_b64_e32 v[14:15], 3, v[6:7]
	v_lshlrev_b64_e32 v[2:3], 3, v[4:5]
	v_add_nc_u32_e32 v5, s6, v6
	v_add_nc_u32_e32 v7, s6, v8
	s_delay_alu instid0(VALU_DEP_4)
	v_add_co_u32 v0, vcc_lo, s18, v14
	s_wait_alu 0xfffd
	v_add_co_ci_u32_e64 v1, null, s19, v15, vcc_lo
	v_add_co_u32 v21, vcc_lo, s18, v19
	s_wait_alu 0xfffd
	v_add_co_ci_u32_e64 v22, null, s19, v20, vcc_lo
	;; [unrolled: 3-line block ×4, first 2 shown]
	v_ashrrev_i32_e32 v6, 31, v5
	v_ashrrev_i32_e32 v8, 31, v7
	scratch_store_b64 off, v[34:35], off offset:424 ; 8-byte Folded Spill
	s_clause 0x4
	global_load_b64 v[46:47], v[0:1], off
	global_load_b64 v[64:65], v[21:22], off
	;; [unrolled: 1-line block ×3, first 2 shown]
	global_load_b128 v[142:145], v[170:171], off
	global_load_b128 v[146:149], v[34:35], off
	v_add_f64_e32 v[0:1], v[96:97], v[86:87]
	s_clause 0x1
	scratch_store_b64 off, v[86:87], off offset:192
	scratch_store_b64 off, v[92:93], off offset:184
	v_lshlrev_b64_e32 v[5:6], 3, v[5:6]
	v_lshlrev_b64_e32 v[7:8], 3, v[7:8]
	v_mul_f64_e32 v[21:22], v[0:1], v[180:181]
	v_add_f64_e32 v[0:1], v[36:37], v[92:93]
	s_delay_alu instid0(VALU_DEP_1)
	v_mul_f64_e32 v[23:24], v[0:1], v[38:39]
	s_wait_loadcnt 0x8
	v_add_f64_e32 v[0:1], v[110:111], v[52:53]
	s_wait_loadcnt 0x6
	scratch_store_b64 off, v[94:95], off offset:208 ; 8-byte Folded Spill
	s_wait_loadcnt 0x3
	v_mul_f64_e32 v[150:151], v[23:24], v[64:65]
	s_wait_loadcnt 0x1
	v_mul_f64_e32 v[25:26], v[0:1], v[142:143]
	v_add_f64_e32 v[0:1], v[100:101], v[94:95]
	s_wait_loadcnt 0x0
	s_delay_alu instid0(VALU_DEP_2) | instskip(NEXT) | instid1(VALU_DEP_2)
	v_mul_f64_e32 v[40:41], v[25:26], v[146:147]
	v_mul_f64_e32 v[62:63], v[0:1], v[138:139]
	s_delay_alu instid0(VALU_DEP_2) | instskip(NEXT) | instid1(VALU_DEP_2)
	v_fma_f64 v[0:1], v[23:24], v[64:65], v[40:41]
	v_mul_f64_e32 v[60:61], v[62:63], v[72:73]
	s_delay_alu instid0(VALU_DEP_1) | instskip(NEXT) | instid1(VALU_DEP_1)
	v_fma_f64 v[32:33], v[21:22], v[46:47], v[60:61]
	v_fma_f64 v[0:1], 0x40080000, v[0:1], v[32:33]
	s_clause 0x2
	global_load_b64 v[168:169], v[17:18], off
	global_load_b128 v[30:33], v[130:131], off
	global_load_b128 v[34:37], v[124:125], off
	s_wait_loadcnt 0x1
	scratch_store_b128 off, v[30:33], off offset:392 ; 16-byte Folded Spill
	s_wait_loadcnt 0x0
	scratch_store_b128 off, v[34:37], off offset:408 ; 16-byte Folded Spill
	v_add_f64_e64 v[17:18], v[30:31], -v[168:169]
	v_fma_f64 v[32:33], v[21:22], v[46:47], v[40:41]
	v_add_f64_e64 v[34:35], v[34:35], -v[168:169]
	s_delay_alu instid0(VALU_DEP_3) | instskip(NEXT) | instid1(VALU_DEP_3)
	v_mul_f64_e32 v[17:18], v[0:1], v[17:18]
	v_fma_f64 v[32:33], 0xbfe80000, v[32:33], v[150:151]
	v_add_co_u32 v0, vcc_lo, s12, v14
	s_wait_alu 0xfffd
	v_add_co_ci_u32_e64 v1, null, s13, v15, vcc_lo
	v_add_nc_u32_e32 v14, s6, v4
	v_add_co_u32 v11, vcc_lo, s12, v11
	s_wait_alu 0xfffd
	v_add_co_ci_u32_e64 v12, null, s13, v12, vcc_lo
	s_delay_alu instid0(VALU_DEP_3) | instskip(SKIP_3) | instid1(VALU_DEP_3)
	v_ashrrev_i32_e32 v15, 31, v14
	v_add_co_u32 v5, vcc_lo, s18, v5
	s_wait_alu 0xfffd
	v_add_co_ci_u32_e64 v6, null, s19, v6, vcc_lo
	v_lshlrev_b64_e32 v[14:15], 3, v[14:15]
	v_add_co_u32 v7, vcc_lo, s18, v7
	s_wait_alu 0xfffd
	v_add_co_ci_u32_e64 v8, null, s19, v8, vcc_lo
	s_delay_alu instid0(VALU_DEP_3)
	v_add_co_u32 v14, vcc_lo, s18, v14
	s_wait_alu 0xfffd
	v_add_co_ci_u32_e64 v15, null, s19, v15, vcc_lo
	v_fma_f64 v[104:105], v[32:33], v[34:35], v[17:18]
	v_dual_mov_b32 v18, v1 :: v_dual_mov_b32 v17, v0
	v_add_co_u32 v0, vcc_lo, s18, v9
	s_wait_alu 0xfffd
	v_add_co_ci_u32_e64 v1, null, s19, v10, vcc_lo
	s_delay_alu instid0(VALU_DEP_1) | instskip(SKIP_3) | instid1(VALU_DEP_1)
	v_dual_mov_b32 v31, v1 :: v_dual_mov_b32 v30, v0
	v_add_co_u32 v0, vcc_lo, s12, v19
	s_wait_alu 0xfffd
	v_add_co_ci_u32_e64 v1, null, s13, v20, vcc_lo
	v_dual_mov_b32 v20, v1 :: v_dual_mov_b32 v19, v0
	s_clause 0x2
	scratch_store_b64 off, v[30:31], off offset:300
	scratch_store_b64 off, v[17:18], off offset:332
	;; [unrolled: 1-line block ×3, first 2 shown]
	s_clause 0x3
	global_load_b64 v[9:10], v[5:6], off
	global_load_b64 v[0:1], v[7:8], off
	;; [unrolled: 1-line block ×3, first 2 shown]
	global_load_b128 v[42:45], v[30:31], off
	s_wait_loadcnt 0x3
	v_dual_mov_b32 v191, v10 :: v_dual_mov_b32 v190, v9
	s_wait_loadcnt 0x1
	v_mul_f64_e32 v[126:127], v[62:63], v[4:5]
	s_wait_loadcnt 0x0
	scratch_store_b128 off, v[42:45], off offset:376 ; 16-byte Folded Spill
	s_clause 0x1
	global_load_b64 v[154:155], v[11:12], off
	global_load_b128 v[30:33], v[19:20], off
	v_mul_f64_e32 v[128:129], v[25:26], v[42:43]
	v_dual_mov_b32 v99, v5 :: v_dual_mov_b32 v98, v4
	v_mul_f64_e32 v[132:133], v[23:24], v[0:1]
	v_dual_mov_b32 v189, v1 :: v_dual_mov_b32 v188, v0
	v_fma_f64 v[6:7], v[21:22], v[9:10], v[126:127]
	v_fma_f64 v[4:5], v[23:24], v[0:1], v[128:129]
	v_add_nc_u32_e32 v0, -2, v48
	s_delay_alu instid0(VALU_DEP_1) | instskip(NEXT) | instid1(VALU_DEP_1)
	v_mul_lo_u32 v115, v0, s3
	v_add_nc_u32_e32 v0, v115, v75
	v_add_nc_u32_e32 v187, s3, v115
	scratch_store_b32 off, v0, off offset:284 ; 4-byte Folded Spill
	v_lshl_add_u32 v114, s3, 1, v187
	v_add_nc_u32_e32 v0, v0, v184
	scratch_store_b32 off, v0, off offset:112 ; 4-byte Folded Spill
	v_fma_f64 v[4:5], 0x40080000, v[4:5], v[6:7]
	s_wait_loadcnt 0x0
	v_add_f64_e64 v[6:7], v[30:31], -v[154:155]
	scratch_store_b128 off, v[30:33], off offset:316 ; 16-byte Folded Spill
	v_mul_f64_e32 v[4:5], v[4:5], v[6:7]
	v_fma_f64 v[6:7], v[21:22], v[9:10], v[128:129]
	global_load_b128 v[8:11], v[17:18], off
	v_fma_f64 v[6:7], 0xbfe80000, v[6:7], v[132:133]
	s_wait_loadcnt 0x0
	scratch_store_b128 off, v[8:11], off offset:340 ; 16-byte Folded Spill
	v_add_f64_e64 v[8:9], v[8:9], -v[154:155]
	v_add_nc_u32_e32 v10, s6, v0
	v_add_nc_u32_e32 v0, v187, v75
	s_delay_alu instid0(VALU_DEP_2)
	v_ashrrev_i32_e32 v11, 31, v10
	scratch_store_b32 off, v0, off offset:280 ; 4-byte Folded Spill
	v_add_nc_u32_e32 v0, v0, v184
	scratch_store_b64 off, v[190:191], off offset:56 ; 8-byte Folded Spill
	v_lshlrev_b64_e32 v[10:11], 3, v[10:11]
	v_add_nc_u32_e32 v17, s6, v0
	scratch_store_b64 off, v[188:189], off offset:48 ; 8-byte Folded Spill
	v_ashrrev_i32_e32 v18, 31, v17
	s_delay_alu instid0(VALU_DEP_1)
	v_lshlrev_b64_e32 v[17:18], 3, v[17:18]
	v_fma_f64 v[174:175], v[6:7], v[8:9], v[4:5]
	v_subrev_nc_u32_e32 v4, s4, v48
	v_add3_u32 v6, v184, v187, v74
	v_add3_u32 v8, v184, v114, v74
	s_ashr_i32 s4, s7, 31
	s_delay_alu instid0(VALU_DEP_3) | instskip(NEXT) | instid1(VALU_DEP_3)
	v_ashrrev_i32_e32 v5, 31, v4
	v_ashrrev_i32_e32 v7, 31, v6
	s_delay_alu instid0(VALU_DEP_3) | instskip(NEXT) | instid1(VALU_DEP_3)
	v_ashrrev_i32_e32 v9, 31, v8
	v_lshlrev_b64_e32 v[4:5], 3, v[4:5]
	s_delay_alu instid0(VALU_DEP_3) | instskip(NEXT) | instid1(VALU_DEP_3)
	v_lshlrev_b64_e32 v[6:7], 3, v[6:7]
	v_lshlrev_b64_e32 v[8:9], 3, v[8:9]
	s_delay_alu instid0(VALU_DEP_3) | instskip(SKIP_3) | instid1(VALU_DEP_2)
	v_add_co_u32 v134, vcc_lo, s26, v4
	v_add3_u32 v4, v184, v115, v74
	s_wait_alu 0xfffd
	v_add_co_ci_u32_e64 v135, null, s27, v5, vcc_lo
	v_ashrrev_i32_e32 v5, 31, v4
	s_delay_alu instid0(VALU_DEP_1) | instskip(NEXT) | instid1(VALU_DEP_1)
	v_lshlrev_b64_e32 v[4:5], 3, v[4:5]
	v_add_co_u32 v4, vcc_lo, s14, v4
	s_wait_alu 0xfffd
	s_delay_alu instid0(VALU_DEP_2)
	v_add_co_ci_u32_e64 v5, null, s15, v5, vcc_lo
	v_add_co_u32 v6, vcc_lo, s14, v6
	s_wait_alu 0xfffd
	v_add_co_ci_u32_e64 v7, null, s15, v7, vcc_lo
	global_load_b64 v[25:26], v[4:5], off
	v_add_co_u32 v8, vcc_lo, s14, v8
	s_wait_alu 0xfffd
	v_add_co_ci_u32_e64 v9, null, s15, v9, vcc_lo
	v_add_co_u32 v14, vcc_lo, s18, v10
	s_wait_alu 0xfffd
	v_add_co_ci_u32_e64 v15, null, s19, v11, vcc_lo
	scratch_store_b32 off, v0, off offset:108 ; 4-byte Folded Spill
	v_add_nc_u32_e32 v0, v114, v75
	v_add_co_u32 v10, vcc_lo, s12, v10
	s_wait_alu 0xfffd
	v_add_co_ci_u32_e64 v11, null, s13, v11, vcc_lo
	v_add_co_u32 v19, vcc_lo, s18, v17
	s_wait_alu 0xfffd
	v_add_co_ci_u32_e64 v20, null, s19, v18, vcc_lo
	;; [unrolled: 3-line block ×3, first 2 shown]
	s_wait_loadcnt 0x0
	scratch_store_b64 off, v[25:26], off offset:140 ; 8-byte Folded Spill
	global_load_b64 v[23:24], v[14:15], off
	global_load_b64 v[21:22], v[6:7], off
	scratch_store_b32 off, v0, off offset:288 ; 4-byte Folded Spill
	v_add_nc_u32_e32 v0, v0, v184
	v_add_nc_u32_e32 v6, s6, v13
	global_load_b64 v[14:15], v[19:20], off
	global_load_b64 v[19:20], v[8:9], off
	global_load_b128 v[116:119], v[134:135], off
	v_add_nc_u32_e32 v4, s6, v0
	v_ashrrev_i32_e32 v7, 31, v6
	scratch_store_b32 off, v0, off offset:164 ; 4-byte Folded Spill
	v_ashrrev_i32_e32 v5, 31, v4
	v_lshlrev_b64_e32 v[0:1], 3, v[6:7]
	s_delay_alu instid0(VALU_DEP_2)
	v_lshlrev_b64_e32 v[4:5], 3, v[4:5]
	scratch_store_b64 off, v[0:1], off offset:16 ; 8-byte Folded Spill
	v_add_co_u32 v6, vcc_lo, s18, v4
	s_wait_alu 0xfffd
	v_add_co_ci_u32_e64 v7, null, s19, v5, vcc_lo
	v_add_co_u32 v152, vcc_lo, s18, v0
	s_wait_alu 0xfffd
	v_add_co_ci_u32_e64 v153, null, s19, v1, vcc_lo
	global_load_b64 v[12:13], v[6:7], off
	v_add_co_u32 v36, vcc_lo, s12, v0
	global_load_b128 v[158:161], v[152:153], off
	s_wait_alu 0xfffd
	v_add_co_ci_u32_e64 v37, null, s13, v1, vcc_lo
	v_ashrrev_i32_e32 v1, 31, v54
	s_wait_loadcnt 0x6
	v_mul_f64_e32 v[6:7], v[25:26], v[23:24]
	s_wait_loadcnt 0x5
	s_clause 0x1
	scratch_store_b64 off, v[21:22], off offset:124
	scratch_store_b64 off, v[23:24], off offset:132
	s_wait_loadcnt 0x4
	scratch_store_b64 off, v[14:15], off offset:116 ; 8-byte Folded Spill
	s_wait_loadcnt 0x1
	v_mul_f64_e32 v[8:9], v[19:20], v[12:13]
	scratch_store_b64 off, v[12:13], off offset:168 ; 8-byte Folded Spill
	v_mul_f64_e32 v[122:123], v[23:24], v[6:7]
	v_mul_f64_e32 v[6:7], v[21:22], v[14:15]
	v_add_nc_u32_e32 v21, v27, v69
	s_delay_alu instid0(VALU_DEP_1) | instskip(NEXT) | instid1(VALU_DEP_1)
	v_ashrrev_i32_e32 v22, 31, v21
	v_lshlrev_b64_e32 v[21:22], 3, v[21:22]
	v_mul_f64_e32 v[102:103], v[12:13], v[8:9]
	v_mul_f64_e32 v[38:39], v[14:15], v[6:7]
	global_load_b128 v[12:15], v[134:135], off offset:-16
	s_wait_loadcnt 0x1
	v_mul_f64_e32 v[6:7], v[110:111], v[158:159]
	scratch_store_b64 off, v[19:20], off offset:176 ; 8-byte Folded Spill
	v_mul_f64_e32 v[90:91], v[118:119], v[102:103]
	v_mul_f64_e32 v[6:7], v[158:159], v[6:7]
	s_delay_alu instid0(VALU_DEP_1) | instskip(SKIP_1) | instid1(VALU_DEP_3)
	v_mul_f64_e32 v[162:163], v[116:117], v[6:7]
	s_wait_loadcnt 0x0
	v_fma_f64 v[6:7], v[12:13], v[122:123], v[90:91]
	s_delay_alu instid0(VALU_DEP_2)
	v_fma_f64 v[8:9], v[14:15], v[38:39], v[162:163]
	scratch_store_b128 off, v[12:15], off offset:148 ; 16-byte Folded Spill
	v_mul_f64_e32 v[165:166], v[14:15], v[38:39]
	v_fma_f64 v[12:13], v[12:13], v[122:123], v[162:163]
	v_fma_f64 v[6:7], 0x40080000, v[8:9], v[6:7]
	s_clause 0x1
	global_load_b64 v[8:9], v[17:18], off
	global_load_b128 v[48:51], v[36:37], off
	v_add_nc_u32_e32 v17, v27, v68
	v_fma_f64 v[12:13], 0xbfe80000, v[12:13], v[165:166]
	s_delay_alu instid0(VALU_DEP_2) | instskip(NEXT) | instid1(VALU_DEP_1)
	v_ashrrev_i32_e32 v18, 31, v17
	v_lshlrev_b64_e32 v[17:18], 3, v[17:18]
	s_wait_loadcnt 0x0
	v_add_f64_e64 v[8:9], v[8:9], -v[48:49]
	s_delay_alu instid0(VALU_DEP_1) | instskip(SKIP_4) | instid1(VALU_DEP_1)
	v_mul_f64_e32 v[6:7], v[6:7], v[8:9]
	global_load_b64 v[8:9], v[10:11], off
	v_ashrrev_i32_e32 v10, 31, v164
	s_wait_loadcnt 0x0
	v_add_f64_e64 v[8:9], v[8:9], -v[48:49]
	v_fma_f64 v[6:7], v[12:13], v[8:9], v[6:7]
	v_subrev_nc_u32_e32 v8, s22, v164
	v_add_nc_u32_e32 v12, v27, v183
	s_delay_alu instid0(VALU_DEP_2) | instskip(NEXT) | instid1(VALU_DEP_2)
	v_ashrrev_i32_e32 v9, 31, v8
	v_ashrrev_i32_e32 v13, 31, v12
	s_delay_alu instid0(VALU_DEP_2) | instskip(NEXT) | instid1(VALU_DEP_2)
	v_lshlrev_b64_e32 v[8:9], 3, v[8:9]
	v_lshlrev_b64_e32 v[12:13], 3, v[12:13]
	s_delay_alu instid0(VALU_DEP_2) | instskip(SKIP_1) | instid1(VALU_DEP_3)
	v_add_co_u32 v8, vcc_lo, s24, v8
	s_wait_alu 0xfffd
	v_add_co_ci_u32_e64 v9, null, s25, v9, vcc_lo
	s_delay_alu instid0(VALU_DEP_3)
	v_add_co_u32 v14, vcc_lo, s14, v12
	s_wait_alu 0xfffd
	v_add_co_ci_u32_e64 v15, null, s15, v13, vcc_lo
	v_add_co_u32 v12, vcc_lo, s16, v12
	s_wait_alu 0xfffd
	v_add_co_ci_u32_e64 v13, null, s17, v13, vcc_lo
	;; [unrolled: 3-line block ×4, first 2 shown]
	global_load_b64 v[14:15], v[14:15], off
	global_load_b64 v[78:79], v[12:13], off
	;; [unrolled: 1-line block ×4, first 2 shown]
	v_add_co_u32 v32, vcc_lo, s14, v21
	s_wait_alu 0xfffd
	v_add_co_ci_u32_e64 v33, null, s15, v22, vcc_lo
	v_add_co_u32 v21, vcc_lo, s16, v21
	s_wait_alu 0xfffd
	v_add_co_ci_u32_e64 v22, null, s17, v22, vcc_lo
	;; [unrolled: 3-line block ×3, first 2 shown]
	s_delay_alu instid0(VALU_DEP_2) | instskip(SKIP_1) | instid1(VALU_DEP_2)
	v_add_co_u32 v0, s2, v0, v54
	s_wait_alu 0xf1ff
	v_add_co_ci_u32_e64 v1, null, v10, v1, s2
	v_ashrrev_i32_e32 v10, 31, v184
	s_delay_alu instid0(VALU_DEP_3)
	v_add_co_u32 v0, vcc_lo, v0, v184
	s_ashr_i32 s2, s6, 31
	s_wait_alu 0xfffd
	v_add_co_ci_u32_e64 v1, null, v1, v10, vcc_lo
	v_add_co_u32 v34, vcc_lo, v0, s6
	s_wait_alu 0xfffc
	s_delay_alu instid0(VALU_DEP_2) | instskip(NEXT) | instid1(VALU_DEP_1)
	v_add_co_ci_u32_e64 v35, null, s2, v1, vcc_lo
	v_lshlrev_b64_e32 v[34:35], 3, v[34:35]
	s_delay_alu instid0(VALU_DEP_1) | instskip(SKIP_1) | instid1(VALU_DEP_2)
	v_add_co_u32 v34, vcc_lo, s18, v34
	s_wait_alu 0xfffd
	v_add_co_ci_u32_e64 v35, null, s19, v35, vcc_lo
	s_wait_loadcnt 0x2
	v_fma_f64 v[17:18], v[14:15], 2.0, v[78:79]
	s_wait_loadcnt 0x0
	v_fma_f64 v[19:20], v[12:13], 2.0, v[70:71]
	global_load_b128 v[12:15], v[170:171], off offset:-16
	s_wait_loadcnt 0x0
	v_mul_f64_e32 v[185:186], v[17:18], v[12:13]
	global_load_b64 v[12:13], v[32:33], off
	global_load_b64 v[0:1], v[21:22], off
	global_load_b128 v[82:85], v[34:35], off offset:-16
	v_mul_f64_e32 v[120:121], v[19:20], v[14:15]
	global_load_b128 v[106:109], v[36:37], off offset:-16
	v_add_nc_u32_e32 v35, s5, v136
	s_mov_b32 s5, 0x3fe55555
	global_load_b128 v[23:26], v[8:9], off offset:-16
	s_wait_loadcnt 0x3
	v_fma_f64 v[178:179], v[12:13], 2.0, v[0:1]
	s_wait_loadcnt 0x2
	v_mul_f64_e32 v[14:15], v[17:18], v[82:83]
	v_mul_f64_e32 v[17:18], v[19:20], v[84:85]
	v_fma_f64 v[19:20], v[110:111], 2.0, v[52:53]
	global_load_b128 v[52:55], v[8:9], off
	s_wait_loadcnt 0x2
	v_add_f64_e64 v[88:89], v[106:107], -v[48:49]
	v_dual_mov_b32 v34, v1 :: v_dual_add_nc_u32 v107, v35, v57
	v_mov_b32_e32 v33, v0
	v_mul_f64_e32 v[12:13], v[178:179], v[160:161]
	v_mul_f64_e32 v[21:22], v[82:83], v[14:15]
	;; [unrolled: 1-line block ×3, first 2 shown]
	s_delay_alu instid0(VALU_DEP_3) | instskip(SKIP_2) | instid1(VALU_DEP_2)
	v_mul_f64_e32 v[76:77], v[160:161], v[12:13]
	v_mul_f64_e32 v[12:13], v[19:20], v[158:159]
	;; [unrolled: 1-line block ×4, first 2 shown]
	s_wait_loadcnt 0x0
	s_delay_alu instid0(VALU_DEP_1) | instskip(SKIP_1) | instid1(VALU_DEP_4)
	v_mul_f64_e32 v[140:141], v[52:53], v[12:13]
	v_mul_f64_e32 v[66:67], v[54:55], v[76:77]
	;; [unrolled: 1-line block ×3, first 2 shown]
	s_delay_alu instid0(VALU_DEP_3) | instskip(NEXT) | instid1(VALU_DEP_3)
	v_fma_f64 v[80:81], v[25:26], v[17:18], v[140:141]
	v_fma_f64 v[58:59], v[23:24], v[21:22], v[66:67]
	v_mul_f64_e32 v[17:18], v[25:26], v[17:18]
	v_fma_f64 v[21:22], v[23:24], v[21:22], v[140:141]
	v_mul_f64_e32 v[19:20], v[142:143], v[19:20]
	s_delay_alu instid0(VALU_DEP_4) | instskip(SKIP_1) | instid1(VALU_DEP_4)
	v_fma_f64 v[58:59], 0x40080000, v[80:81], v[58:59]
	v_add_f64_e64 v[80:81], v[108:109], -v[48:49]
	v_fma_f64 v[21:22], 0xbfe80000, v[21:22], v[17:18]
	s_delay_alu instid0(VALU_DEP_2) | instskip(NEXT) | instid1(VALU_DEP_1)
	v_mul_f64_e32 v[58:59], v[58:59], v[80:81]
	v_fma_f64 v[21:22], v[21:22], v[88:89], v[58:59]
	v_add_nc_u32_e32 v58, v35, v56
	v_add_nc_u32_e32 v88, s3, v114
	;; [unrolled: 1-line block ×3, first 2 shown]
	s_load_b128 s[0:3], s[0:1], 0x60
	s_delay_alu instid0(VALU_DEP_3) | instskip(NEXT) | instid1(VALU_DEP_1)
	v_ashrrev_i32_e32 v59, 31, v58
	v_lshlrev_b64_e32 v[58:59], 3, v[58:59]
	s_delay_alu instid0(VALU_DEP_1) | instskip(SKIP_1) | instid1(VALU_DEP_2)
	v_add_co_u32 v80, vcc_lo, s14, v58
	s_wait_alu 0xfffd
	v_add_co_ci_u32_e64 v81, null, s15, v59, vcc_lo
	v_add_co_u32 v58, vcc_lo, s16, v58
	s_wait_alu 0xfffd
	v_add_co_ci_u32_e64 v59, null, s17, v59, vcc_lo
	global_load_b64 v[108:109], v[80:81], off
	global_load_b64 v[31:32], v[58:59], off
	v_add_co_u32 v172, vcc_lo, s12, v28
	v_add_nc_u32_e32 v28, s20, v107
	s_wait_alu 0xfffd
	v_add_co_ci_u32_e64 v173, null, s13, v29, vcc_lo
	v_fma_f64 v[58:59], v[62:63], v[72:73], v[40:41]
	s_delay_alu instid0(VALU_DEP_3) | instskip(NEXT) | instid1(VALU_DEP_1)
	v_ashrrev_i32_e32 v29, 31, v28
	v_lshlrev_b64_e32 v[176:177], 3, v[28:29]
	v_add_nc_u32_e32 v28, s6, v28
	s_delay_alu instid0(VALU_DEP_2) | instskip(SKIP_1) | instid1(VALU_DEP_3)
	v_add_co_u32 v56, vcc_lo, s18, v176
	s_wait_alu 0xfffd
	v_add_co_ci_u32_e64 v57, null, s19, v177, vcc_lo
	s_delay_alu instid0(VALU_DEP_3) | instskip(SKIP_3) | instid1(VALU_DEP_2)
	v_ashrrev_i32_e32 v29, 31, v28
	global_load_b64 v[136:137], v[56:57], off
	v_lshlrev_b64_e32 v[10:11], 3, v[28:29]
	v_add_nc_u32_e32 v28, s6, v28
	v_add_co_u32 v56, vcc_lo, s18, v10
	s_wait_alu 0xfffd
	s_delay_alu instid0(VALU_DEP_3) | instskip(NEXT) | instid1(VALU_DEP_3)
	v_add_co_ci_u32_e64 v57, null, s19, v11, vcc_lo
	v_ashrrev_i32_e32 v29, 31, v28
	global_load_b64 v[14:15], v[56:57], off
	v_lshlrev_b64_e32 v[28:29], 3, v[28:29]
	s_delay_alu instid0(VALU_DEP_1) | instskip(SKIP_1) | instid1(VALU_DEP_2)
	v_add_co_u32 v28, vcc_lo, s18, v28
	s_wait_alu 0xfffd
	v_add_co_ci_u32_e64 v29, null, s19, v29, vcc_lo
	s_wait_loadcnt 0x2
	v_add_f64_e32 v[56:57], v[108:109], v[31:32]
	s_wait_loadcnt 0x1
	s_delay_alu instid0(VALU_DEP_1) | instskip(SKIP_1) | instid1(VALU_DEP_1)
	v_mul_f64_e32 v[0:1], v[56:57], v[136:137]
	s_wait_loadcnt 0x0
	v_fma_f64 v[56:57], v[0:1], v[14:15], v[150:151]
	v_add_co_u32 v150, vcc_lo, s12, v2
	s_wait_alu 0xfffd
	v_add_co_ci_u32_e64 v151, null, s13, v3, vcc_lo
	global_load_b128 v[156:159], v[150:151], off
	v_fma_f64 v[80:81], 0x40080000, v[58:59], v[56:57]
	global_load_b128 v[56:59], v[172:173], off
	s_wait_loadcnt 0x0
	v_add_f64_e64 v[56:57], v[56:57], -v[168:169]
	s_delay_alu instid0(VALU_DEP_1)
	v_fma_f64 v[56:57], v[80:81], v[56:57], v[104:105]
	global_load_b64 v[104:105], v[28:29], off
	s_wait_loadcnt 0x0
	v_mov_b32_e32 v12, v104
	v_fma_f64 v[2:3], v[0:1], v[104:105], v[132:133]
	v_dual_mov_b32 v13, v105 :: v_dual_mov_b32 v106, v99
	v_dual_mov_b32 v105, v98 :: v_dual_add_nc_u32 v104, v88, v75
	s_delay_alu instid0(VALU_DEP_1) | instskip(NEXT) | instid1(VALU_DEP_2)
	v_fma_f64 v[28:29], v[62:63], v[105:106], v[128:129]
	v_add_nc_u32_e32 v62, v104, v184
	scratch_store_b64 off, v[105:106], off offset:64 ; 8-byte Folded Spill
	v_fma_f64 v[2:3], 0x40080000, v[28:29], v[2:3]
	v_add_f64_e64 v[28:29], v[156:157], -v[154:155]
	s_delay_alu instid0(VALU_DEP_1) | instskip(SKIP_1) | instid1(VALU_DEP_1)
	v_fma_f64 v[2:3], v[2:3], v[28:29], v[174:175]
	v_add3_u32 v28, v184, v88, v74
	v_ashrrev_i32_e32 v29, 31, v28
	s_delay_alu instid0(VALU_DEP_1) | instskip(NEXT) | instid1(VALU_DEP_1)
	v_lshlrev_b64_e32 v[28:29], 3, v[28:29]
	v_add_co_u32 v28, vcc_lo, s14, v28
	s_wait_alu 0xfffd
	s_delay_alu instid0(VALU_DEP_2)
	v_add_co_ci_u32_e64 v29, null, s15, v29, vcc_lo
	v_add_co_u32 v4, vcc_lo, s12, v4
	s_wait_alu 0xfffd
	v_add_co_ci_u32_e64 v5, null, s13, v5, vcc_lo
	global_load_b64 v[28:29], v[28:29], off
	s_clause 0x1
	scratch_store_b64 off, v[31:32], off offset:224
	scratch_store_b32 off, v62, off offset:248
	v_add_nc_u32_e32 v62, s6, v62
	s_delay_alu instid0(VALU_DEP_1) | instskip(NEXT) | instid1(VALU_DEP_1)
	v_ashrrev_i32_e32 v63, 31, v62
	v_lshlrev_b64_e32 v[74:75], 3, v[62:63]
	s_delay_alu instid0(VALU_DEP_1) | instskip(SKIP_1) | instid1(VALU_DEP_2)
	v_add_co_u32 v62, vcc_lo, s18, v74
	s_wait_alu 0xfffd
	v_add_co_ci_u32_e64 v63, null, s19, v75, vcc_lo
	s_wait_loadcnt 0x0
	scratch_store_b64 off, v[28:29], off offset:240 ; 8-byte Folded Spill
	global_load_b64 v[132:133], v[62:63], off
	global_load_b64 v[62:63], v[134:135], off offset:16
	global_load_b64 v[4:5], v[4:5], off
	s_wait_loadcnt 0x2
	v_mul_f64_e32 v[28:29], v[28:29], v[132:133]
	s_wait_loadcnt 0x1
	v_dual_mov_b32 v135, v63 :: v_dual_mov_b32 v134, v62
	s_wait_loadcnt 0x0
	v_add_f64_e64 v[4:5], v[4:5], -v[48:49]
	scratch_store_b64 off, v[134:135], off offset:292 ; 8-byte Folded Spill
	v_mul_f64_e32 v[98:99], v[132:133], v[28:29]
	s_delay_alu instid0(VALU_DEP_1) | instskip(SKIP_1) | instid1(VALU_DEP_1)
	v_fma_f64 v[28:29], v[62:63], v[98:99], v[165:166]
	v_fma_f64 v[62:63], v[118:119], v[102:103], v[162:163]
	;; [unrolled: 1-line block ×3, first 2 shown]
	s_delay_alu instid0(VALU_DEP_1) | instskip(SKIP_1) | instid1(VALU_DEP_1)
	v_fma_f64 v[4:5], v[28:29], v[4:5], v[6:7]
	v_add_nc_u32_e32 v6, v27, v89
	v_ashrrev_i32_e32 v7, 31, v6
	s_delay_alu instid0(VALU_DEP_1) | instskip(NEXT) | instid1(VALU_DEP_1)
	v_lshlrev_b64_e32 v[6:7], 3, v[6:7]
	v_add_co_u32 v28, vcc_lo, s14, v6
	s_wait_alu 0xfffd
	s_delay_alu instid0(VALU_DEP_2)
	v_add_co_ci_u32_e64 v29, null, s15, v7, vcc_lo
	v_add_co_u32 v6, vcc_lo, s16, v6
	s_wait_alu 0xfffd
	v_add_co_ci_u32_e64 v7, null, s17, v7, vcc_lo
	global_load_b64 v[62:63], v[28:29], off
	global_load_b64 v[166:167], v[6:7], off
	global_load_b64 v[164:165], v[152:153], off offset:16
	global_load_b64 v[80:81], v[8:9], off offset:16
	v_add_co_u32 v176, vcc_lo, s12, v176
	s_wait_alu 0xfffd
	v_add_co_ci_u32_e64 v177, null, s13, v177, vcc_lo
	v_dual_mov_b32 v30, v13 :: v_dual_mov_b32 v29, v12
	v_mul_f64_e32 v[27:28], v[52:53], v[116:117]
	s_clause 0x2
	scratch_store_b64 off, v[138:139], off offset:216
	scratch_store_b64 off, v[180:181], off offset:200
	;; [unrolled: 1-line block ×3, first 2 shown]
	s_wait_loadcnt 0x2
	v_fma_f64 v[174:175], v[62:63], 2.0, v[166:167]
	s_wait_loadcnt 0x1
	s_delay_alu instid0(VALU_DEP_1) | instskip(NEXT) | instid1(VALU_DEP_1)
	v_mul_f64_e32 v[6:7], v[174:175], v[164:165]
	v_mul_f64_e32 v[6:7], v[164:165], v[6:7]
	s_wait_loadcnt 0x0
	s_delay_alu instid0(VALU_DEP_1) | instskip(SKIP_2) | instid1(VALU_DEP_2)
	v_fma_f64 v[8:9], v[80:81], v[6:7], v[17:18]
	v_fma_f64 v[17:18], v[54:55], v[76:77], v[140:141]
	;; [unrolled: 1-line block ×4, first 2 shown]
	v_add_f64_e64 v[17:18], v[50:51], -v[48:49]
	s_delay_alu instid0(VALU_DEP_3) | instskip(SKIP_1) | instid1(VALU_DEP_3)
	v_fma_f64 v[6:7], 0xbfe80000, v[6:7], v[66:67]
	v_fma_f64 v[66:67], v[100:101], 2.0, v[94:95]
	v_fma_f64 v[8:9], v[8:9], v[17:18], v[21:22]
	v_fma_f64 v[17:18], v[0:1], v[14:15], v[40:41]
	v_fma_f64 v[0:1], v[0:1], v[12:13], v[128:129]
	v_fma_f64 v[40:41], v[96:97], 2.0, v[86:87]
	s_delay_alu instid0(VALU_DEP_3)
	v_fma_f64 v[17:18], 0xbfe80000, v[17:18], v[60:61]
	global_load_b128 v[60:63], v[176:177], off
	v_fma_f64 v[0:1], 0xbfe80000, v[0:1], v[126:127]
	s_wait_loadcnt 0x0
	v_add_f64_e64 v[21:22], v[60:61], -v[168:169]
	v_add_co_u32 v168, vcc_lo, s12, v10
	s_wait_alu 0xfffd
	v_add_co_ci_u32_e64 v169, null, s13, v11, vcc_lo
	global_load_b128 v[10:13], v[168:169], off
	v_fma_f64 v[17:18], v[17:18], v[21:22], v[56:57]
	s_wait_loadcnt 0x0
	scratch_store_b128 off, v[10:13], off offset:360 ; 16-byte Folded Spill
	v_add_f64_e64 v[10:11], v[10:11], -v[154:155]
	s_delay_alu instid0(VALU_DEP_1)
	v_fma_f64 v[12:13], v[0:1], v[10:11], v[2:3]
	v_add_co_u32 v2, vcc_lo, s12, v74
	s_wait_alu 0xfffd
	v_add_co_ci_u32_e64 v3, null, s13, v75, vcc_lo
	v_fma_f64 v[10:11], v[134:135], v[98:99], v[162:163]
	v_mul_f64_e32 v[162:163], v[66:67], v[138:139]
	global_load_b64 v[2:3], v[2:3], off
	v_fma_f64 v[10:11], 0xbfe80000, v[10:11], v[90:91]
	v_mul_f64_e32 v[66:67], v[52:53], v[162:163]
	s_delay_alu instid0(VALU_DEP_1) | instskip(SKIP_3) | instid1(VALU_DEP_1)
	v_mul_f64_e32 v[66:67], v[138:139], v[66:67]
	v_dual_mov_b32 v139, v101 :: v_dual_mov_b32 v138, v100
	s_wait_loadcnt 0x0
	v_add_f64_e64 v[2:3], v[2:3], -v[48:49]
	v_fma_f64 v[2:3], v[10:11], v[2:3], v[4:5]
	s_wait_kmcnt 0x0
	v_add_co_u32 v4, vcc_lo, s0, v112
	s_wait_alu 0xfffd
	v_add_co_ci_u32_e64 v5, null, s1, v113, vcc_lo
	s_mov_b32 s1, 0x3fc55555
	s_mov_b32 s0, 0x55555555
	global_load_b64 v[0:1], v[4:5], off
	scratch_store_b64 off, v[29:30], off offset:72 ; 8-byte Folded Spill
	s_wait_alu 0xfffe
	s_mov_b32 s4, s0
	v_mul_f64_e32 v[2:3], s[0:1], v[2:3]
	s_wait_loadcnt 0x0
	v_div_scale_f64 v[4:5], null, v[0:1], v[0:1], v[27:28]
	scratch_store_b64 off, v[0:1], off offset:32 ; 8-byte Folded Spill
	v_rcp_f64_e32 v[10:11], v[4:5]
	s_delay_alu instid0(TRANS32_DEP_1) | instskip(NEXT) | instid1(VALU_DEP_1)
	v_fma_f64 v[21:22], -v[4:5], v[10:11], 1.0
	v_fma_f64 v[10:11], v[10:11], v[21:22], v[10:11]
	s_delay_alu instid0(VALU_DEP_1) | instskip(NEXT) | instid1(VALU_DEP_1)
	v_fma_f64 v[21:22], -v[4:5], v[10:11], 1.0
	v_fma_f64 v[10:11], v[10:11], v[21:22], v[10:11]
	v_div_scale_f64 v[21:22], vcc_lo, v[27:28], v[0:1], v[27:28]
	s_delay_alu instid0(VALU_DEP_1) | instskip(NEXT) | instid1(VALU_DEP_1)
	v_mul_f64_e32 v[50:51], v[21:22], v[10:11]
	v_fma_f64 v[4:5], -v[4:5], v[50:51], v[21:22]
	s_wait_alu 0xfffd
	s_delay_alu instid0(VALU_DEP_1)
	v_div_fmas_f64 v[0:1], v[4:5], v[10:11], v[50:51]
	v_div_scale_f64 v[4:5], null, v[116:117], v[116:117], 1.0
	s_clause 0x1
	scratch_store_b64 off, v[0:1], off offset:40
	scratch_store_b64 off, v[96:97], off offset:264
	v_rcp_f64_e32 v[10:11], v[4:5]
	s_delay_alu instid0(TRANS32_DEP_1) | instskip(NEXT) | instid1(VALU_DEP_1)
	v_fma_f64 v[21:22], -v[4:5], v[10:11], 1.0
	v_fma_f64 v[10:11], v[10:11], v[21:22], v[10:11]
	s_delay_alu instid0(VALU_DEP_1) | instskip(NEXT) | instid1(VALU_DEP_1)
	v_fma_f64 v[21:22], -v[4:5], v[10:11], 1.0
	v_fma_f64 v[10:11], v[10:11], v[21:22], v[10:11]
	v_div_scale_f64 v[21:22], vcc_lo, 1.0, v[116:117], 1.0
	s_delay_alu instid0(VALU_DEP_1) | instskip(NEXT) | instid1(VALU_DEP_1)
	v_mul_f64_e32 v[50:51], v[21:22], v[10:11]
	v_fma_f64 v[4:5], -v[4:5], v[50:51], v[21:22]
	s_wait_alu 0xfffd
	s_delay_alu instid0(VALU_DEP_1) | instskip(SKIP_1) | instid1(VALU_DEP_1)
	v_div_fmas_f64 v[4:5], v[4:5], v[10:11], v[50:51]
	v_div_scale_f64 v[10:11], null, v[52:53], v[52:53], 1.0
	v_rcp_f64_e32 v[21:22], v[10:11]
	s_delay_alu instid0(TRANS32_DEP_1) | instskip(NEXT) | instid1(VALU_DEP_1)
	v_fma_f64 v[50:51], -v[10:11], v[21:22], 1.0
	v_fma_f64 v[21:22], v[21:22], v[50:51], v[21:22]
	s_delay_alu instid0(VALU_DEP_1) | instskip(NEXT) | instid1(VALU_DEP_1)
	v_fma_f64 v[50:51], -v[10:11], v[21:22], 1.0
	v_fma_f64 v[21:22], v[21:22], v[50:51], v[21:22]
	v_div_scale_f64 v[50:51], vcc_lo, 1.0, v[52:53], 1.0
	s_delay_alu instid0(VALU_DEP_1) | instskip(NEXT) | instid1(VALU_DEP_1)
	v_mul_f64_e32 v[56:57], v[50:51], v[21:22]
	v_fma_f64 v[10:11], -v[10:11], v[56:57], v[50:51]
	s_wait_alu 0xfffd
	s_delay_alu instid0(VALU_DEP_1)
	v_div_fmas_f64 v[0:1], v[10:11], v[21:22], v[56:57]
	global_load_b64 v[21:22], v[36:37], off offset:16
	v_mul_f64_e32 v[56:57], v[40:41], v[180:181]
	v_dual_mov_b32 v36, v72 :: v_dual_mov_b32 v37, v73
	s_clause 0x1
	scratch_load_b32 v10, off, off offset:80 th:TH_LOAD_LU
	scratch_load_b64 v[86:87], off, off
	v_div_fixup_f64 v[90:91], v[0:1], v[52:53], 1.0
	v_mul_f64_e32 v[40:41], v[52:53], v[56:57]
	s_delay_alu instid0(VALU_DEP_1) | instskip(SKIP_3) | instid1(VALU_DEP_1)
	v_mul_f64_e32 v[40:41], v[180:181], v[40:41]
	scratch_load_b64 v[180:181], off, off offset:8 ; 8-byte Folded Reload
	s_wait_loadcnt 0x3
	v_add_f64_e64 v[21:22], v[21:22], -v[48:49]
	v_fma_f64 v[6:7], v[6:7], v[21:22], v[8:9]
	v_mul_f64_e32 v[21:22], v[116:117], v[46:47]
	v_mul_f64_e32 v[8:9], v[116:117], v[146:147]
	s_delay_alu instid0(VALU_DEP_2) | instskip(SKIP_2) | instid1(VALU_DEP_3)
	v_mul_f64_e32 v[21:22], v[46:47], v[21:22]
	s_wait_loadcnt 0x0
	v_fma_f64 v[50:51], v[180:181], 2.0, v[92:93]
	v_mul_f64_e32 v[8:9], v[146:147], v[8:9]
	v_dual_mov_b32 v147, v109 :: v_dual_mov_b32 v146, v108
	v_dual_mov_b32 v93, v15 :: v_dual_mov_b32 v92, v14
	v_mul_f64_e32 v[21:22], v[116:117], v[21:22]
	v_mul_f64_e32 v[140:141], v[50:51], v[86:87]
	v_mul_f64_e32 v[8:9], v[116:117], v[8:9]
	s_delay_alu instid0(VALU_DEP_3) | instskip(NEXT) | instid1(VALU_DEP_3)
	v_fma_f64 v[21:22], v[190:191], v[190:191], v[21:22]
	v_mul_f64_e32 v[50:51], v[52:53], v[140:141]
	s_delay_alu instid0(VALU_DEP_3) | instskip(NEXT) | instid1(VALU_DEP_3)
	v_fma_f64 v[8:9], v[42:43], v[42:43], v[8:9]
	v_mul_f64_e32 v[21:22], v[96:97], v[21:22]
	s_delay_alu instid0(VALU_DEP_3) | instskip(NEXT) | instid1(VALU_DEP_3)
	v_mul_f64_e32 v[50:51], v[86:87], v[50:51]
	v_mul_f64_e32 v[8:9], v[110:111], v[8:9]
	scratch_load_b64 v[86:87], off, off offset:424 th:TH_LOAD_LU ; 8-byte Folded Reload
	v_fma_f64 v[21:22], v[52:53], v[40:41], v[21:22]
	v_mul_f64_e32 v[40:41], v[116:117], v[64:65]
	v_fma_f64 v[8:9], v[52:53], v[19:20], v[8:9]
	s_delay_alu instid0(VALU_DEP_2) | instskip(NEXT) | instid1(VALU_DEP_1)
	v_mul_f64_e32 v[40:41], v[64:65], v[40:41]
	v_mul_f64_e32 v[40:41], v[116:117], v[40:41]
	s_delay_alu instid0(VALU_DEP_1) | instskip(NEXT) | instid1(VALU_DEP_1)
	v_fma_f64 v[40:41], v[188:189], v[188:189], v[40:41]
	v_mul_f64_e32 v[40:41], v[180:181], v[40:41]
	s_delay_alu instid0(VALU_DEP_1) | instskip(SKIP_1) | instid1(VALU_DEP_2)
	v_fma_f64 v[40:41], v[52:53], v[50:51], v[40:41]
	v_mul_f64_e32 v[50:51], v[116:117], v[36:37]
	v_add_f64_e32 v[44:45], v[40:41], v[8:9]
	s_delay_alu instid0(VALU_DEP_2) | instskip(NEXT) | instid1(VALU_DEP_1)
	v_mul_f64_e32 v[50:51], v[36:37], v[50:51]
	v_mul_f64_e32 v[50:51], v[116:117], v[50:51]
	s_delay_alu instid0(VALU_DEP_1) | instskip(NEXT) | instid1(VALU_DEP_1)
	v_fma_f64 v[50:51], v[105:106], v[105:106], v[50:51]
	v_mul_f64_e32 v[50:51], v[100:101], v[50:51]
	s_delay_alu instid0(VALU_DEP_1) | instskip(NEXT) | instid1(VALU_DEP_1)
	v_fma_f64 v[50:51], v[52:53], v[66:67], v[50:51]
	v_add_f64_e32 v[19:20], v[21:22], v[50:51]
	v_add_f64_e32 v[21:22], v[21:22], v[8:9]
	s_delay_alu instid0(VALU_DEP_2) | instskip(SKIP_1) | instid1(VALU_DEP_3)
	v_fma_f64 v[19:20], 0x40080000, v[44:45], v[19:20]
	v_add_nc_u32_e32 v44, s6, v182
	v_fma_f64 v[21:22], 0xbfe80000, v[21:22], v[40:41]
	s_delay_alu instid0(VALU_DEP_2) | instskip(NEXT) | instid1(VALU_DEP_1)
	v_ashrrev_i32_e32 v45, 31, v44
	v_lshlrev_b64_e32 v[76:77], 3, v[44:45]
	s_delay_alu instid0(VALU_DEP_1) | instskip(SKIP_1) | instid1(VALU_DEP_2)
	v_add_co_u32 v94, vcc_lo, s12, v76
	s_wait_alu 0xfffd
	v_add_co_ci_u32_e64 v95, null, s13, v77, vcc_lo
	global_load_b128 v[110:113], v[94:95], off
	s_wait_loadcnt 0x0
	v_add_f64_e64 v[44:45], v[110:111], -v[48:49]
	s_delay_alu instid0(VALU_DEP_1) | instskip(SKIP_1) | instid1(VALU_DEP_1)
	v_mul_f64_e32 v[19:20], v[19:20], v[44:45]
	v_add_nc_u32_e32 v44, s6, v10
	v_ashrrev_i32_e32 v45, 31, v44
	s_delay_alu instid0(VALU_DEP_1) | instskip(NEXT) | instid1(VALU_DEP_1)
	v_lshlrev_b64_e32 v[96:97], 3, v[44:45]
	v_add_co_u32 v100, vcc_lo, s12, v96
	s_wait_alu 0xfffd
	s_delay_alu instid0(VALU_DEP_2) | instskip(SKIP_3) | instid1(VALU_DEP_1)
	v_add_co_ci_u32_e64 v101, null, s13, v97, vcc_lo
	global_load_b128 v[126:129], v[100:101], off
	s_wait_loadcnt 0x0
	v_add_f64_e64 v[44:45], v[126:127], -v[48:49]
	v_fma_f64 v[19:20], v[21:22], v[44:45], v[19:20]
	v_mul_f64_e32 v[21:22], v[116:117], v[14:15]
	v_fma_f64 v[44:45], v[146:147], 2.0, v[31:32]
	v_dual_mov_b32 v31, v70 :: v_dual_mov_b32 v32, v71
	s_delay_alu instid0(VALU_DEP_3) | instskip(NEXT) | instid1(VALU_DEP_3)
	v_mul_f64_e32 v[21:22], v[14:15], v[21:22]
	v_mul_f64_e32 v[126:127], v[44:45], v[136:137]
	s_delay_alu instid0(VALU_DEP_2) | instskip(NEXT) | instid1(VALU_DEP_2)
	v_mul_f64_e32 v[21:22], v[116:117], v[21:22]
	v_mul_f64_e32 v[44:45], v[52:53], v[126:127]
	s_delay_alu instid0(VALU_DEP_2) | instskip(NEXT) | instid1(VALU_DEP_2)
	v_fma_f64 v[21:22], v[29:30], v[29:30], v[21:22]
	v_mul_f64_e32 v[44:45], v[136:137], v[44:45]
	s_delay_alu instid0(VALU_DEP_2) | instskip(NEXT) | instid1(VALU_DEP_1)
	v_mul_f64_e32 v[21:22], v[146:147], v[21:22]
	v_fma_f64 v[21:22], v[52:53], v[44:45], v[21:22]
	v_add_f64_e32 v[44:45], v[8:9], v[50:51]
	s_delay_alu instid0(VALU_DEP_2) | instskip(SKIP_1) | instid1(VALU_DEP_2)
	v_add_f64_e32 v[40:41], v[40:41], v[21:22]
	v_add_f64_e32 v[8:9], v[8:9], v[21:22]
	v_fma_f64 v[40:41], 0x40080000, v[44:45], v[40:41]
	v_add_nc_u32_e32 v44, s6, v16
	s_delay_alu instid0(VALU_DEP_3) | instskip(NEXT) | instid1(VALU_DEP_2)
	v_fma_f64 v[8:9], 0xbfe80000, v[8:9], v[50:51]
	v_ashrrev_i32_e32 v45, 31, v44
	s_delay_alu instid0(VALU_DEP_1) | instskip(NEXT) | instid1(VALU_DEP_1)
	v_lshlrev_b64_e32 v[190:191], 3, v[44:45]
	v_add_co_u32 v10, vcc_lo, s12, v190
	s_wait_alu 0xfffd
	s_delay_alu instid0(VALU_DEP_2) | instskip(SKIP_3) | instid1(VALU_DEP_1)
	v_add_co_ci_u32_e64 v11, null, s13, v191, vcc_lo
	global_load_b128 v[154:157], v[10:11], off
	s_wait_loadcnt 0x0
	v_add_f64_e64 v[44:45], v[154:155], -v[48:49]
	v_fma_f64 v[40:41], v[44:45], v[40:41], v[19:20]
	v_add_nc_u32_e32 v19, s6, v107
	s_delay_alu instid0(VALU_DEP_1) | instskip(NEXT) | instid1(VALU_DEP_1)
	v_ashrrev_i32_e32 v20, 31, v19
	v_lshlrev_b64_e32 v[21:22], 3, v[19:20]
	s_delay_alu instid0(VALU_DEP_1) | instskip(SKIP_1) | instid1(VALU_DEP_2)
	v_add_co_u32 v188, vcc_lo, s12, v21
	s_wait_alu 0xfffd
	v_add_co_ci_u32_e64 v189, null, s13, v22, vcc_lo
	global_load_b128 v[27:30], v[188:189], off
	s_wait_loadcnt 0x0
	v_add_f64_e64 v[19:20], v[27:28], -v[48:49]
	global_load_b128 v[48:51], v[86:87], off offset:-16
	v_fma_f64 v[8:9], v[19:20], v[8:9], v[40:41]
	v_div_fixup_f64 v[40:41], v[4:5], v[116:117], 1.0
	v_mul_f64_e32 v[4:5], s[0:1], v[6:7]
	v_add_nc_u32_e32 v20, s20, v184
	s_delay_alu instid0(VALU_DEP_3) | instskip(NEXT) | instid1(VALU_DEP_3)
	v_mul_f64_e32 v[6:7], v[90:91], v[40:41]
	v_fma_f64 v[4:5], v[40:41], v[4:5], 0
	s_delay_alu instid0(VALU_DEP_1) | instskip(SKIP_1) | instid1(VALU_DEP_1)
	v_fma_f64 v[2:3], v[90:91], v[2:3], v[4:5]
	v_mul_f64_e32 v[4:5], s[0:1], v[8:9]
	v_fma_f64 v[2:3], v[6:7], v[4:5], v[2:3]
	s_delay_alu instid0(VALU_DEP_1)
	v_fma_f64 v[0:1], v[17:18], s[0:1], v[2:3]
	s_clause 0x2
	scratch_store_b64 off, v[64:65], off offset:272
	scratch_store_b64 off, v[136:137], off offset:232
	;; [unrolled: 1-line block ×3, first 2 shown]
	v_mul_f64_e32 v[0:1], s[0:1], v[12:13]
	scratch_store_b64 off, v[46:47], off offset:256 ; 8-byte Folded Spill
	s_mov_b32 s1, 0x3fb55555
	scratch_store_b64 off, v[0:1], off offset:88 ; 8-byte Folded Spill
	s_clause 0x1
	global_load_b128 v[6:9], v[100:101], off offset:-16
	global_load_b128 v[12:15], v[188:189], off offset:-16
	s_wait_loadcnt 0x2
	v_mul_f64_e32 v[44:45], v[78:79], v[48:49]
	v_mul_f64_e32 v[110:111], v[70:71], v[50:51]
	s_delay_alu instid0(VALU_DEP_2) | instskip(SKIP_3) | instid1(VALU_DEP_1)
	v_mul_f64_e32 v[44:45], v[82:83], v[44:45]
	s_wait_loadcnt 0x0
	v_add_f64_e64 v[2:3], v[12:13], -v[6:7]
	s_wait_alu 0xfffe
	v_mul_f64_e32 v[16:17], s[0:1], v[2:3]
	s_clause 0x3
	global_load_b128 v[2:5], v[10:11], off offset:-16
	global_load_b128 v[48:51], v[94:95], off offset:-16
	;; [unrolled: 1-line block ×4, first 2 shown]
	s_wait_loadcnt 0x2
	v_add_f64_e64 v[18:19], v[2:3], -v[48:49]
	v_add_f64_e64 v[134:135], v[4:5], -v[50:51]
	;; [unrolled: 1-line block ×4, first 2 shown]
	s_delay_alu instid0(VALU_DEP_4) | instskip(SKIP_2) | instid1(VALU_DEP_1)
	v_fma_f64 v[0:1], v[18:19], s[4:5], -v[16:17]
	s_wait_loadcnt 0x0
	v_add_f64_e64 v[16:17], v[64:65], -v[72:73]
	v_mul_f64_e32 v[27:28], s[0:1], v[16:17]
	s_clause 0x1
	global_load_b128 v[16:19], v[130:131], off offset:-16
	global_load_b128 v[152:155], v[172:173], off offset:-16
	s_wait_loadcnt 0x0
	v_add_f64_e64 v[60:61], v[152:153], -v[16:17]
	v_add_f64_e64 v[136:137], v[154:155], -v[18:19]
	s_delay_alu instid0(VALU_DEP_2) | instskip(SKIP_3) | instid1(VALU_DEP_4)
	v_fma_f64 v[27:28], v[60:61], s[4:5], -v[27:28]
	v_add_f64_e64 v[60:61], v[14:15], -v[8:9]
	v_add_f64_e64 v[14:15], v[29:30], -v[14:15]
	;; [unrolled: 1-line block ×3, first 2 shown]
	v_mul_f64_e32 v[27:28], v[27:28], v[44:45]
	s_delay_alu instid0(VALU_DEP_4) | instskip(SKIP_1) | instid1(VALU_DEP_3)
	v_mul_f64_e32 v[60:61], s[0:1], v[60:61]
	v_mul_f64_e32 v[44:45], v[84:85], v[120:121]
	;; [unrolled: 1-line block ×3, first 2 shown]
	s_delay_alu instid0(VALU_DEP_3) | instskip(SKIP_1) | instid1(VALU_DEP_2)
	v_fma_f64 v[60:61], v[134:135], s[4:5], -v[60:61]
	v_add_f64_e64 v[134:135], v[66:67], -v[74:75]
	v_mul_f64_e32 v[44:45], v[60:61], v[44:45]
	s_delay_alu instid0(VALU_DEP_2) | instskip(SKIP_1) | instid1(VALU_DEP_2)
	v_mul_f64_e32 v[134:135], s[0:1], v[134:135]
	v_mul_f64_e32 v[60:61], v[84:85], v[110:111]
	v_fma_f64 v[134:135], v[136:137], s[4:5], -v[134:135]
	v_mul_f64_e32 v[136:137], v[82:83], v[185:186]
	s_delay_alu instid0(VALU_DEP_2) | instskip(NEXT) | instid1(VALU_DEP_2)
	v_mul_f64_e32 v[60:61], v[134:135], v[60:61]
	v_mul_f64_e32 v[0:1], v[0:1], v[136:137]
	s_delay_alu instid0(VALU_DEP_1) | instskip(NEXT) | instid1(VALU_DEP_3)
	v_fma_f64 v[180:181], v[23:24], v[0:1], v[27:28]
	v_mul_f64_e32 v[0:1], v[116:117], v[60:61]
	v_add3_u32 v23, v89, s7, v20
	v_add3_u32 v24, v183, s7, v20
	s_delay_alu instid0(VALU_DEP_1) | instskip(NEXT) | instid1(VALU_DEP_1)
	v_add_nc_u32_e32 v110, v24, v115
	v_ashrrev_i32_e32 v111, 31, v110
	s_delay_alu instid0(VALU_DEP_1)
	v_lshlrev_b64_e32 v[110:111], 3, v[110:111]
	v_fma_f64 v[142:143], v[25:26], v[44:45], v[0:1]
	v_add3_u32 v25, v69, s7, v20
	v_add_nc_u32_e32 v26, v23, v88
	v_add3_u32 v20, v68, s7, v20
	v_add_nc_u32_e32 v44, v24, v88
	v_add_nc_u32_e32 v68, v23, v115
	;; [unrolled: 1-line block ×3, first 2 shown]
	v_ashrrev_i32_e32 v27, 31, v26
	v_add_nc_u32_e32 v60, v20, v88
	v_ashrrev_i32_e32 v45, 31, v44
	v_add_nc_u32_e32 v120, v25, v115
	v_ashrrev_i32_e32 v47, 31, v46
	v_lshlrev_b64_e32 v[26:27], 3, v[26:27]
	v_ashrrev_i32_e32 v61, 31, v60
	v_lshlrev_b64_e32 v[44:45], 3, v[44:45]
	;; [unrolled: 2-line block ×3, first 2 shown]
	v_add_nc_u32_e32 v134, v20, v115
	v_add_co_u32 v26, vcc_lo, s12, v26
	v_lshlrev_b64_e32 v[60:61], 3, v[60:61]
	v_ashrrev_i32_e32 v121, 31, v120
	s_wait_alu 0xfffd
	v_add_co_ci_u32_e64 v27, null, s13, v27, vcc_lo
	v_add_co_u32 v44, vcc_lo, s12, v44
	v_lshlrev_b64_e32 v[68:69], 3, v[68:69]
	v_ashrrev_i32_e32 v135, 31, v134
	s_wait_alu 0xfffd
	v_add_co_ci_u32_e64 v45, null, s13, v45, vcc_lo
	v_add_co_u32 v46, vcc_lo, s12, v46
	s_wait_alu 0xfffd
	v_add_co_ci_u32_e64 v47, null, s13, v47, vcc_lo
	v_add_co_u32 v60, vcc_lo, s12, v60
	v_lshlrev_b64_e32 v[120:121], 3, v[120:121]
	s_wait_alu 0xfffd
	v_add_co_ci_u32_e64 v61, null, s13, v61, vcc_lo
	v_add_co_u32 v68, vcc_lo, s12, v68
	v_lshlrev_b64_e32 v[134:135], 3, v[134:135]
	s_wait_alu 0xfffd
	v_add_co_ci_u32_e64 v69, null, s13, v69, vcc_lo
	v_add_co_u32 v110, vcc_lo, s12, v110
	s_wait_alu 0xfffd
	v_add_co_ci_u32_e64 v111, null, s13, v111, vcc_lo
	v_add_co_u32 v120, vcc_lo, s12, v120
	;; [unrolled: 3-line block ×3, first 2 shown]
	s_wait_alu 0xfffd
	v_add_co_ci_u32_e64 v135, null, s13, v135, vcc_lo
	s_clause 0x3
	global_load_b64 v[68:69], v[68:69], off
	global_load_b64 v[110:111], v[110:111], off
	;; [unrolled: 1-line block ×4, first 2 shown]
	v_mul_f64_e32 v[0:1], v[178:179], v[144:145]
	v_add_nc_u32_e32 v185, v20, v187
	s_mul_i32 s7, s6, 3
	s_delay_alu instid0(VALU_DEP_1) | instskip(NEXT) | instid1(VALU_DEP_1)
	v_ashrrev_i32_e32 v186, 31, v185
	v_lshlrev_b64_e32 v[185:186], 3, v[185:186]
	s_delay_alu instid0(VALU_DEP_4) | instskip(SKIP_4) | instid1(VALU_DEP_2)
	v_mul_f64_e32 v[0:1], v[160:161], v[0:1]
	s_wait_loadcnt 0x2
	v_add_f64_e64 v[120:121], v[68:69], -v[110:111]
	s_wait_loadcnt 0x0
	v_add_f64_e64 v[178:179], v[136:137], -v[134:135]
	v_mul_f64_e32 v[120:121], s[0:1], v[120:121]
	s_delay_alu instid0(VALU_DEP_1)
	v_fma_f64 v[120:121], v[178:179], s[4:5], -v[120:121]
	s_clause 0x3
	global_load_b64 v[26:27], v[26:27], off
	global_load_b64 v[178:179], v[44:45], off
	;; [unrolled: 1-line block ×4, first 2 shown]
	s_wait_loadcnt 0x2
	v_add_f64_e64 v[44:45], v[26:27], -v[178:179]
	s_wait_loadcnt 0x0
	v_add_f64_e64 v[46:47], v[183:184], -v[60:61]
	s_delay_alu instid0(VALU_DEP_2) | instskip(NEXT) | instid1(VALU_DEP_1)
	v_mul_f64_e32 v[44:45], s[0:1], v[44:45]
	v_fma_f64 v[44:45], v[46:47], s[4:5], -v[44:45]
	v_mul_f64_e32 v[46:47], v[122:123], v[120:121]
	v_add_nc_u32_e32 v122, v23, v187
	v_add_nc_u32_e32 v120, v24, v187
	s_delay_alu instid0(VALU_DEP_2) | instskip(NEXT) | instid1(VALU_DEP_2)
	v_ashrrev_i32_e32 v123, 31, v122
	v_ashrrev_i32_e32 v121, 31, v120
	s_delay_alu instid0(VALU_DEP_2) | instskip(NEXT) | instid1(VALU_DEP_2)
	v_lshlrev_b64_e32 v[122:123], 3, v[122:123]
	v_lshlrev_b64_e32 v[120:121], 3, v[120:121]
	v_fma_f64 v[42:43], v[98:99], v[44:45], -v[46:47]
	v_add_nc_u32_e32 v44, v23, v114
	v_add_nc_u32_e32 v46, v24, v114
	;; [unrolled: 1-line block ×5, first 2 shown]
	v_ashrrev_i32_e32 v45, 31, v44
	v_ashrrev_i32_e32 v47, 31, v46
	;; [unrolled: 1-line block ×5, first 2 shown]
	v_lshlrev_b64_e32 v[44:45], 3, v[44:45]
	v_lshlrev_b64_e32 v[46:47], 3, v[46:47]
	;; [unrolled: 1-line block ×5, first 2 shown]
	v_add_f64_e64 v[25:26], v[26:27], -v[68:69]
	v_add_co_u32 v44, vcc_lo, s12, v44
	s_wait_alu 0xfffd
	v_add_co_ci_u32_e64 v45, null, s13, v45, vcc_lo
	v_add_co_u32 v46, vcc_lo, s12, v46
	s_wait_alu 0xfffd
	v_add_co_ci_u32_e64 v47, null, s13, v47, vcc_lo
	;; [unrolled: 3-line block ×8, first 2 shown]
	scratch_store_b64 off, v[42:43], off offset:100 ; 8-byte Folded Spill
	s_clause 0x3
	global_load_b64 v[122:123], v[122:123], off
	global_load_b64 v[120:121], v[120:121], off
	;; [unrolled: 1-line block ×4, first 2 shown]
	v_add_f64_e64 v[68:69], v[178:179], -v[110:111]
	v_mul_f64_e32 v[25:26], s[0:1], v[25:26]
	s_wait_loadcnt 0x2
	v_add_f64_e64 v[106:107], v[122:123], -v[120:121]
	s_wait_loadcnt 0x0
	v_add_f64_e64 v[108:109], v[23:24], -v[185:186]
	s_delay_alu instid0(VALU_DEP_2) | instskip(NEXT) | instid1(VALU_DEP_1)
	v_mul_f64_e32 v[106:107], s[0:1], v[106:107]
	v_fma_f64 v[106:107], v[108:109], s[4:5], -v[106:107]
	s_clause 0x4
	global_load_b64 v[108:109], v[44:45], off
	global_load_b64 v[46:47], v[46:47], off
	;; [unrolled: 1-line block ×4, first 2 shown]
	global_load_b64 v[10:11], v[10:11], off offset:16
	s_wait_loadcnt 0x4
	v_add_f64_e64 v[27:28], v[108:109], -v[122:123]
	s_wait_loadcnt 0x3
	v_add_f64_e64 v[44:45], v[108:109], -v[46:47]
	v_add_f64_e64 v[46:47], v[46:47], -v[120:121]
	s_wait_loadcnt 0x2
	v_add_f64_e64 v[23:24], v[98:99], -v[23:24]
	s_wait_loadcnt 0x1
	;; [unrolled: 2-line block ×3, first 2 shown]
	v_add_f64_e64 v[2:3], v[10:11], -v[2:3]
	v_fma_f64 v[25:26], v[27:28], s[4:5], -v[25:26]
	v_mul_f64_e32 v[27:28], s[0:1], v[68:69]
	v_mul_f64_e32 v[44:45], s[0:1], v[44:45]
	v_add_f64_e64 v[68:69], v[156:157], -v[112:113]
	v_mul_f64_e32 v[2:3], s[0:1], v[2:3]
	s_delay_alu instid0(VALU_DEP_4) | instskip(SKIP_4) | instid1(VALU_DEP_4)
	v_fma_f64 v[27:28], v[46:47], s[4:5], -v[27:28]
	v_mul_f64_e32 v[46:47], v[78:79], v[82:83]
	v_fma_f64 v[44:45], v[88:89], s[4:5], -v[44:45]
	v_mul_f64_e32 v[88:89], v[38:39], v[106:107]
	;; [unrolled: 2-line block ×3, first 2 shown]
	s_delay_alu instid0(VALU_DEP_3) | instskip(NEXT) | instid1(VALU_DEP_2)
	v_fma_f64 v[44:45], v[102:103], v[44:45], -v[88:89]
	v_mul_f64_e32 v[27:28], v[46:47], v[27:28]
	v_mul_f64_e32 v[46:47], v[166:167], v[164:165]
	s_delay_alu instid0(VALU_DEP_1) | instskip(NEXT) | instid1(VALU_DEP_1)
	v_mul_f64_e32 v[46:47], v[164:165], v[46:47]
	v_fma_f64 v[46:47], v[46:47], v[25:26], -v[27:28]
	v_add_f64_e64 v[25:26], v[183:184], -v[136:137]
	v_add_f64_e64 v[27:28], v[60:61], -v[134:135]
	;; [unrolled: 1-line block ×3, first 2 shown]
	s_delay_alu instid0(VALU_DEP_3) | instskip(NEXT) | instid1(VALU_DEP_1)
	v_mul_f64_e32 v[25:26], s[0:1], v[25:26]
	v_fma_f64 v[23:24], v[23:24], s[4:5], -v[25:26]
	s_delay_alu instid0(VALU_DEP_4) | instskip(SKIP_1) | instid1(VALU_DEP_2)
	v_mul_f64_e32 v[25:26], s[0:1], v[27:28]
	v_mul_f64_e32 v[27:28], v[70:71], v[84:85]
	v_fma_f64 v[25:26], v[60:61], s[4:5], -v[25:26]
	s_delay_alu instid0(VALU_DEP_2) | instskip(SKIP_3) | instid1(VALU_DEP_1)
	v_mul_f64_e32 v[27:28], v[84:85], v[27:28]
	global_load_b64 v[60:61], v[100:101], off offset:16
	v_mul_f64_e32 v[25:26], v[27:28], v[25:26]
	v_mul_f64_e32 v[27:28], v[33:34], v[160:161]
	;; [unrolled: 1-line block ×3, first 2 shown]
	s_delay_alu instid0(VALU_DEP_1)
	v_fma_f64 v[110:111], v[27:28], v[23:24], -v[25:26]
	v_add_co_u32 v23, vcc_lo, s18, v96
	s_wait_alu 0xfffd
	v_add_co_ci_u32_e64 v24, null, s19, v97, vcc_lo
	v_add_co_u32 v25, vcc_lo, s18, v190
	s_wait_alu 0xfffd
	v_add_co_ci_u32_e64 v26, null, s19, v191, vcc_lo
	;; [unrolled: 3-line block ×3, first 2 shown]
	v_add_f64_e64 v[76:77], v[29:30], -v[128:129]
	s_clause 0x1
	global_load_b64 v[29:30], v[188:189], off offset:16
	global_load_b64 v[88:89], v[94:95], off offset:16
	v_add_co_u32 v20, vcc_lo, s18, v21
	s_wait_alu 0xfffd
	v_add_co_ci_u32_e64 v21, null, s19, v22, vcc_lo
	s_clause 0x1
	global_load_b64 v[134:135], v[23:24], off
	global_load_b64 v[112:113], v[25:26], off
	v_mul_f64_e32 v[94:95], v[33:34], v[148:149]
	global_load_b64 v[122:123], v[20:21], off
	s_wait_loadcnt 0x5
	v_add_f64_e64 v[6:7], v[60:61], -v[6:7]
	s_delay_alu instid0(VALU_DEP_1) | instskip(NEXT) | instid1(VALU_DEP_1)
	v_mul_f64_e32 v[6:7], s[0:1], v[6:7]
	v_fma_f64 v[6:7], v[8:9], s[4:5], -v[6:7]
	v_mul_f64_e32 v[8:9], s[0:1], v[76:77]
	s_delay_alu instid0(VALU_DEP_1)
	v_fma_f64 v[8:9], v[68:69], s[4:5], -v[8:9]
	scratch_load_b128 v[68:71], off, off offset:392 th:TH_LOAD_LU ; 16-byte Folded Reload
	s_wait_loadcnt 0x5
	v_add_f64_e64 v[12:13], v[29:30], -v[12:13]
	s_wait_loadcnt 0x4
	v_add_f64_e64 v[48:49], v[88:89], -v[48:49]
	v_mul_f64_e32 v[0:1], v[8:9], v[0:1]
	s_delay_alu instid0(VALU_DEP_3) | instskip(NEXT) | instid1(VALU_DEP_3)
	v_mul_f64_e32 v[12:13], s[0:1], v[12:13]
	v_mul_f64_e32 v[4:5], s[0:1], v[48:49]
	s_delay_alu instid0(VALU_DEP_2) | instskip(NEXT) | instid1(VALU_DEP_2)
	v_fma_f64 v[12:13], v[14:15], s[4:5], -v[12:13]
	v_fma_f64 v[4:5], v[50:51], s[4:5], -v[4:5]
	scratch_load_b128 v[48:51], off, off offset:408 th:TH_LOAD_LU ; 16-byte Folded Reload
	s_wait_loadcnt 0x1
	v_dual_mov_b32 v38, v70 :: v_dual_mov_b32 v39, v71
	s_delay_alu instid0(VALU_DEP_1) | instskip(SKIP_4) | instid1(VALU_DEP_1)
	v_add_f64_e64 v[42:43], v[58:59], -v[38:39]
	v_add_f64_e64 v[58:59], v[58:59], -v[154:155]
	;; [unrolled: 1-line block ×3, first 2 shown]
	s_wait_loadcnt 0x0
	v_dual_mov_b32 v48, v50 :: v_dual_mov_b32 v49, v51
	v_add_f64_e64 v[14:15], v[62:63], -v[48:49]
	v_add_f64_e64 v[62:63], v[62:63], -v[66:67]
	s_delay_alu instid0(VALU_DEP_2) | instskip(NEXT) | instid1(VALU_DEP_1)
	v_mul_f64_e32 v[14:15], s[0:1], v[14:15]
	v_fma_f64 v[14:15], v[42:43], s[4:5], -v[14:15]
	global_load_b64 v[42:43], v[27:28], off
	v_mul_f64_e32 v[20:21], v[126:127], v[122:123]
	v_add_f64_e64 v[126:127], v[48:49], -v[74:75]
	s_delay_alu instid0(VALU_DEP_2) | instskip(SKIP_1) | instid1(VALU_DEP_2)
	v_mul_f64_e32 v[12:13], v[20:21], v[12:13]
	v_mul_f64_e32 v[20:21], v[56:57], v[134:135]
	;; [unrolled: 1-line block ×3, first 2 shown]
	s_delay_alu instid0(VALU_DEP_2) | instskip(SKIP_1) | instid1(VALU_DEP_2)
	v_mul_f64_e32 v[6:7], v[20:21], v[6:7]
	v_mul_f64_e32 v[20:21], v[162:163], v[112:113]
	;; [unrolled: 1-line block ×3, first 2 shown]
	s_delay_alu instid0(VALU_DEP_2) | instskip(SKIP_3) | instid1(VALU_DEP_1)
	v_mul_f64_e32 v[2:3], v[20:21], v[2:3]
	v_add_f64_e64 v[6:7], v[10:11], -v[88:89]
	s_wait_loadcnt 0x0
	v_mul_f64_e32 v[20:21], v[140:141], v[42:43]
	v_mul_f64_e32 v[4:5], v[20:21], v[4:5]
	;; [unrolled: 1-line block ×3, first 2 shown]
	s_delay_alu instid0(VALU_DEP_1) | instskip(NEXT) | instid1(VALU_DEP_1)
	v_mul_f64_e32 v[14:15], v[14:15], v[20:21]
	v_mul_f64_e32 v[8:9], v[116:117], v[14:15]
	s_delay_alu instid0(VALU_DEP_1)
	v_fma_f64 v[162:163], v[54:55], v[0:1], v[8:9]
	v_mul_f64_e32 v[54:55], v[52:53], v[2:3]
	v_mul_f64_e32 v[52:53], v[52:53], v[4:5]
	s_clause 0x2
	global_load_b64 v[0:1], v[124:125], off offset:16
	global_load_b64 v[2:3], v[172:173], off offset:16
	;; [unrolled: 1-line block ×3, first 2 shown]
	v_add_f64_e64 v[8:9], v[29:30], -v[60:61]
	s_delay_alu instid0(VALU_DEP_1)
	v_mul_f64_e32 v[8:9], s[0:1], v[8:9]
	s_wait_loadcnt 0x2
	v_add_f64_e64 v[128:129], v[0:1], -v[72:73]
	s_wait_loadcnt 0x1
	v_add_f64_e64 v[124:125], v[2:3], -v[152:153]
	;; [unrolled: 2-line block ×3, first 2 shown]
	v_add_f64_e64 v[2:3], v[2:3], -v[4:5]
	global_load_b64 v[4:5], v[176:177], off offset:16
	v_mul_f64_e32 v[22:23], s[0:1], v[22:23]
	s_delay_alu instid0(VALU_DEP_1)
	v_fma_f64 v[18:19], v[18:19], s[4:5], -v[22:23]
	s_wait_loadcnt 0x0
	v_add_f64_e64 v[130:131], v[4:5], -v[64:65]
	v_add_f64_e64 v[4:5], v[4:5], -v[0:1]
	global_load_b64 v[0:1], v[170:171], off offset:16
	v_mul_f64_e32 v[4:5], s[0:1], v[4:5]
	s_delay_alu instid0(VALU_DEP_1) | instskip(SKIP_4) | instid1(VALU_DEP_1)
	v_fma_f64 v[172:173], v[2:3], s[4:5], -v[4:5]
	global_load_b64 v[2:3], v[86:87], off offset:16
	v_fma_f64 v[170:171], v[6:7], s[4:5], -v[8:9]
	s_wait_loadcnt 0x1
	v_mul_f64_e32 v[0:1], v[174:175], v[0:1]
	v_mul_f64_e32 v[0:1], v[164:165], v[0:1]
	s_wait_loadcnt 0x0
	v_mul_f64_e32 v[2:3], v[166:167], v[2:3]
	s_delay_alu instid0(VALU_DEP_2) | instskip(NEXT) | instid1(VALU_DEP_2)
	v_mul_f64_e32 v[0:1], v[170:171], v[0:1]
	v_mul_f64_e32 v[2:3], v[164:165], v[2:3]
	s_delay_alu instid0(VALU_DEP_1) | instskip(NEXT) | instid1(VALU_DEP_1)
	v_mul_f64_e32 v[2:3], v[172:173], v[2:3]
	v_mul_f64_e32 v[2:3], v[116:117], v[2:3]
	s_delay_alu instid0(VALU_DEP_1)
	v_fma_f64 v[8:9], v[80:81], v[0:1], v[2:3]
	scratch_load_b128 v[0:3], off, off offset:376 th:TH_LOAD_LU ; 16-byte Folded Reload
	s_wait_loadcnt 0x0
	v_mul_f64_e32 v[170:171], v[33:34], v[2:3]
	global_load_b128 v[0:3], v[168:169], off offset:-16
	s_clause 0x4
	scratch_load_b128 v[10:13], off, off offset:360 th:TH_LOAD_LU
	scratch_load_b128 v[4:7], off, off offset:340 th:TH_LOAD_LU
	scratch_load_b64 v[14:15], off, off offset:332 th:TH_LOAD_LU
	scratch_load_b64 v[28:29], off, off offset:308 th:TH_LOAD_LU
	;; [unrolled: 1-line block ×3, first 2 shown]
	s_wait_loadcnt 0x4
	v_add_f64_e64 v[108:109], v[12:13], -v[2:3]
	s_wait_loadcnt 0x3
	v_dual_mov_b32 v11, v7 :: v_dual_mov_b32 v10, v6
	s_wait_loadcnt 0x2
	s_clause 0x1
	global_load_b128 v[4:7], v[14:15], off offset:-16
	global_load_b64 v[14:15], v[14:15], off offset:16
	s_wait_loadcnt 0x2
	global_load_b64 v[24:25], v[26:27], off offset:16
	v_add_f64_e64 v[172:173], v[12:13], -v[10:11]
	s_wait_loadcnt 0x2
	v_add_f64_e64 v[20:21], v[10:11], -v[6:7]
	global_load_b64 v[10:11], v[168:169], off offset:16
	v_add_f64_e64 v[12:13], v[0:1], -v[4:5]
	v_add_f64_e64 v[168:169], v[2:3], -v[6:7]
	s_wait_loadcnt 0x2
	v_add_f64_e64 v[86:87], v[14:15], -v[4:5]
	scratch_load_b128 v[4:7], off, off offset:316 th:TH_LOAD_LU ; 16-byte Folded Reload
	s_wait_loadcnt 0x2
	v_mul_f64_e32 v[24:25], v[166:167], v[24:25]
	s_wait_loadcnt 0x1
	v_add_f64_e64 v[152:153], v[10:11], -v[0:1]
	global_load_b128 v[0:3], v[150:151], off offset:-16
	v_add_f64_e64 v[10:11], v[10:11], -v[14:15]
	global_load_b64 v[14:15], v[150:151], off offset:16
	s_wait_loadcnt 0x2
	v_dual_mov_b32 v17, v7 :: v_dual_mov_b32 v16, v6
	global_load_b128 v[4:7], v[28:29], off offset:-16
	v_add_f64_e64 v[174:175], v[158:159], -v[16:17]
	s_wait_loadcnt 0x2
	v_add_f64_e64 v[106:107], v[158:159], -v[2:3]
	s_wait_loadcnt 0x0
	v_add_f64_e64 v[166:167], v[2:3], -v[6:7]
	global_load_b64 v[2:3], v[28:29], off offset:16
	v_add_f64_e64 v[16:17], v[16:17], -v[6:7]
	v_mul_f64_e32 v[6:7], s[0:1], v[10:11]
	v_add_f64_e64 v[150:151], v[14:15], -v[0:1]
	v_add_f64_e64 v[0:1], v[0:1], -v[4:5]
	s_delay_alu instid0(VALU_DEP_2) | instskip(NEXT) | instid1(VALU_DEP_1)
	v_mul_f64_e32 v[22:23], s[0:1], v[150:151]
	v_fma_f64 v[22:23], v[106:107], s[4:5], -v[22:23]
	s_wait_loadcnt 0x0
	v_add_f64_e64 v[28:29], v[2:3], -v[4:5]
	v_add_f64_e64 v[2:3], v[14:15], -v[2:3]
	v_mul_f64_e32 v[4:5], v[164:165], v[24:25]
	scratch_load_b32 v15, off, off offset:284 th:TH_LOAD_LU ; 4-byte Folded Reload
	v_mul_f64_e32 v[28:29], s[0:1], v[28:29]
	v_fma_f64 v[2:3], v[2:3], s[4:5], -v[6:7]
	s_delay_alu instid0(VALU_DEP_2) | instskip(NEXT) | instid1(VALU_DEP_2)
	v_fma_f64 v[16:17], v[16:17], s[4:5], -v[28:29]
	v_fma_f64 v[8:9], v[2:3], v[4:5], v[8:9]
	v_mul_f64_e32 v[2:3], s[0:1], v[12:13]
	s_delay_alu instid0(VALU_DEP_1)
	v_fma_f64 v[4:5], v[0:1], s[4:5], -v[2:3]
	global_load_b128 v[0:3], v[26:27], off offset:-16
	s_clause 0x1
	scratch_load_b32 v26, off, off offset:288 th:TH_LOAD_LU
	scratch_load_b32 v14, off, off offset:280 th:TH_LOAD_LU
	s_wait_loadcnt 0x3
	v_add3_u32 v158, v15, v35, s6
	v_mov_b32_e32 v48, v15
	s_delay_alu instid0(VALU_DEP_2)
	v_ashrrev_i32_e32 v159, 31, v158
	s_wait_loadcnt 0x2
	v_mul_f64_e32 v[0:1], v[78:79], v[0:1]
	v_mul_f64_e32 v[2:3], v[31:32], v[2:3]
	s_wait_loadcnt 0x1
	v_add3_u32 v156, v26, v35, s6
	s_wait_loadcnt 0x0
	v_add3_u32 v10, v14, v35, s6
	v_dual_mov_b32 v56, v26 :: v_dual_mov_b32 v51, v14
	s_delay_alu instid0(VALU_DEP_3) | instskip(NEXT) | instid1(VALU_DEP_3)
	v_ashrrev_i32_e32 v157, 31, v156
	v_ashrrev_i32_e32 v11, 31, v10
	s_delay_alu instid0(VALU_DEP_1) | instskip(SKIP_2) | instid1(VALU_DEP_1)
	v_lshlrev_b64_e32 v[6:7], 3, v[10:11]
	v_add_nc_u32_e32 v10, s6, v10
	v_mul_f64_e32 v[0:1], v[82:83], v[0:1]
	v_fma_f64 v[12:13], v[4:5], v[0:1], v[180:181]
	v_mul_f64_e32 v[4:5], s[0:1], v[172:173]
	v_mul_f64_e32 v[0:1], v[160:161], v[170:171]
	v_add3_u32 v160, v104, v35, s6
	s_delay_alu instid0(VALU_DEP_1) | instskip(SKIP_2) | instid1(VALU_DEP_2)
	v_ashrrev_i32_e32 v161, 31, v160
	v_add_f64_e64 v[8:9], v[8:9], -v[12:13]
	v_fma_f64 v[4:5], v[174:175], s[4:5], -v[4:5]
	v_mul_f64_e32 v[8:9], s[0:1], v[8:9]
	s_delay_alu instid0(VALU_DEP_2) | instskip(SKIP_3) | instid1(VALU_DEP_2)
	v_fma_f64 v[32:33], v[4:5], v[0:1], v[162:163]
	v_mul_f64_e32 v[0:1], v[84:85], v[2:3]
	v_mul_f64_e32 v[2:3], s[0:1], v[168:169]
	v_lshlrev_b64_e32 v[4:5], 3, v[156:157]
	v_fma_f64 v[2:3], v[166:167], s[4:5], -v[2:3]
	s_delay_alu instid0(VALU_DEP_1) | instskip(SKIP_2) | instid1(VALU_DEP_2)
	v_fma_f64 v[24:25], v[2:3], v[0:1], v[142:143]
	v_lshlrev_b64_e32 v[0:1], 3, v[160:161]
	v_lshlrev_b64_e32 v[2:3], 3, v[158:159]
	v_add_co_u32 v0, vcc_lo, s12, v0
	s_wait_alu 0xfffd
	s_delay_alu instid0(VALU_DEP_3) | instskip(NEXT) | instid1(VALU_DEP_3)
	v_add_co_ci_u32_e64 v1, null, s13, v1, vcc_lo
	v_add_co_u32 v2, vcc_lo, s12, v2
	s_wait_alu 0xfffd
	v_add_co_ci_u32_e64 v3, null, s13, v3, vcc_lo
	v_add_co_u32 v4, vcc_lo, s12, v4
	s_wait_alu 0xfffd
	v_add_co_ci_u32_e64 v5, null, s13, v5, vcc_lo
	v_add_co_u32 v6, vcc_lo, s12, v6
	s_wait_alu 0xfffd
	v_add_co_ci_u32_e64 v7, null, s13, v7, vcc_lo
	s_clause 0x3
	global_load_b64 v[163:164], v[0:1], off
	global_load_b64 v[169:170], v[2:3], off
	global_load_b64 v[173:174], v[4:5], off
	global_load_b64 v[167:168], v[6:7], off
	v_add_f64_e64 v[12:13], v[32:33], -v[24:25]
	s_delay_alu instid0(VALU_DEP_1) | instskip(SKIP_4) | instid1(VALU_DEP_2)
	v_fma_f64 v[8:9], v[12:13], s[4:5], -v[8:9]
	s_wait_loadcnt 0x2
	v_add_f64_e64 v[0:1], v[163:164], -v[169:170]
	s_wait_loadcnt 0x0
	v_add_f64_e64 v[2:3], v[173:174], -v[167:168]
	v_mul_f64_e32 v[0:1], s[0:1], v[0:1]
	s_delay_alu instid0(VALU_DEP_1)
	v_fma_f64 v[171:172], v[2:3], s[4:5], -v[0:1]
	scratch_load_b32 v2, off, off offset:252 th:TH_LOAD_LU ; 4-byte Folded Reload
	s_wait_loadcnt 0x0
	v_mov_b32_e32 v6, v2
	v_add3_u32 v175, v104, v2, s6
	v_add3_u32 v165, v15, v2, s6
	s_delay_alu instid0(VALU_DEP_3) | instskip(NEXT) | instid1(VALU_DEP_3)
	v_add3_u32 v140, v26, v6, s6
	v_ashrrev_i32_e32 v176, 31, v175
	v_add3_u32 v67, v14, v6, s6
	s_delay_alu instid0(VALU_DEP_4) | instskip(NEXT) | instid1(VALU_DEP_4)
	v_ashrrev_i32_e32 v166, 31, v165
	v_ashrrev_i32_e32 v141, 31, v140
	s_delay_alu instid0(VALU_DEP_4) | instskip(NEXT) | instid1(VALU_DEP_4)
	v_lshlrev_b64_e32 v[0:1], 3, v[175:176]
	v_ashrrev_i32_e32 v68, 31, v67
	s_delay_alu instid0(VALU_DEP_4) | instskip(NEXT) | instid1(VALU_DEP_4)
	v_lshlrev_b64_e32 v[2:3], 3, v[165:166]
	v_lshlrev_b64_e32 v[4:5], 3, v[140:141]
	s_delay_alu instid0(VALU_DEP_4) | instskip(NEXT) | instid1(VALU_DEP_4)
	v_add_co_u32 v0, vcc_lo, s12, v0
	v_lshlrev_b64_e32 v[6:7], 3, v[67:68]
	s_wait_alu 0xfffd
	v_add_co_ci_u32_e64 v1, null, s13, v1, vcc_lo
	v_add_co_u32 v2, vcc_lo, s12, v2
	s_wait_alu 0xfffd
	v_add_co_ci_u32_e64 v3, null, s13, v3, vcc_lo
	v_add_co_u32 v4, vcc_lo, s12, v4
	s_wait_alu 0xfffd
	v_add_co_ci_u32_e64 v5, null, s13, v5, vcc_lo
	v_add_co_u32 v6, vcc_lo, s12, v6
	s_wait_alu 0xfffd
	v_add_co_ci_u32_e64 v7, null, s13, v7, vcc_lo
	s_clause 0x3
	global_load_b64 v[176:177], v[0:1], off
	global_load_b64 v[182:183], v[2:3], off
	;; [unrolled: 1-line block ×4, first 2 shown]
	s_wait_loadcnt 0x2
	v_add_f64_e64 v[2:3], v[176:177], -v[182:183]
	s_wait_loadcnt 0x0
	v_add_f64_e64 v[4:5], v[0:1], -v[180:181]
	v_add_f64_e64 v[0:1], v[173:174], -v[0:1]
	s_delay_alu instid0(VALU_DEP_3) | instskip(NEXT) | instid1(VALU_DEP_2)
	v_mul_f64_e32 v[2:3], s[0:1], v[2:3]
	v_mul_f64_e32 v[0:1], s[0:1], v[0:1]
	s_delay_alu instid0(VALU_DEP_2)
	v_fma_f64 v[186:187], v[4:5], s[4:5], -v[2:3]
	scratch_load_b32 v4, off, off offset:356 th:TH_LOAD_LU ; 4-byte Folded Reload
	s_wait_loadcnt 0x0
	v_mov_b32_e32 v11, v4
	v_add3_u32 v184, v104, v4, s6
	v_add3_u32 v178, v48, v4, s6
	s_delay_alu instid0(VALU_DEP_3) | instskip(NEXT) | instid1(VALU_DEP_3)
	v_add3_u32 v154, v56, v11, s6
	v_ashrrev_i32_e32 v185, 31, v184
	v_add3_u32 v141, v51, v11, s6
	s_delay_alu instid0(VALU_DEP_4) | instskip(NEXT) | instid1(VALU_DEP_4)
	v_ashrrev_i32_e32 v179, 31, v178
	v_ashrrev_i32_e32 v155, 31, v154
	s_delay_alu instid0(VALU_DEP_4) | instskip(NEXT) | instid1(VALU_DEP_4)
	v_lshlrev_b64_e32 v[2:3], 3, v[184:185]
	v_ashrrev_i32_e32 v142, 31, v141
	s_delay_alu instid0(VALU_DEP_4) | instskip(NEXT) | instid1(VALU_DEP_4)
	v_lshlrev_b64_e32 v[4:5], 3, v[178:179]
	v_lshlrev_b64_e32 v[6:7], 3, v[154:155]
	s_delay_alu instid0(VALU_DEP_4) | instskip(NEXT) | instid1(VALU_DEP_4)
	v_add_co_u32 v2, vcc_lo, s12, v2
	v_lshlrev_b64_e32 v[14:15], 3, v[141:142]
	s_wait_alu 0xfffd
	v_add_co_ci_u32_e64 v3, null, s13, v3, vcc_lo
	v_add_co_u32 v4, vcc_lo, s12, v4
	s_wait_alu 0xfffd
	v_add_co_ci_u32_e64 v5, null, s13, v5, vcc_lo
	v_add_co_u32 v6, vcc_lo, s12, v6
	;; [unrolled: 3-line block ×3, first 2 shown]
	s_wait_alu 0xfffd
	v_add_co_ci_u32_e64 v15, null, s13, v15, vcc_lo
	s_clause 0x3
	global_load_b64 v[2:3], v[2:3], off
	global_load_b64 v[26:27], v[4:5], off
	;; [unrolled: 1-line block ×4, first 2 shown]
	scratch_load_b32 v11, off, off offset:96 th:TH_LOAD_LU ; 4-byte Folded Reload
	s_wait_loadcnt 0x3
	v_add_f64_e64 v[14:15], v[2:3], -v[26:27]
	s_wait_loadcnt 0x1
	v_add_f64_e64 v[30:31], v[4:5], -v[6:7]
	s_wait_loadcnt 0x0
	v_add3_u32 v48, v48, v11, s6
	v_add3_u32 v161, v56, v11, s6
	;; [unrolled: 1-line block ×3, first 2 shown]
	s_delay_alu instid0(VALU_DEP_3) | instskip(NEXT) | instid1(VALU_DEP_3)
	v_ashrrev_i32_e32 v49, 31, v48
	v_ashrrev_i32_e32 v162, 31, v161
	s_delay_alu instid0(VALU_DEP_3) | instskip(SKIP_1) | instid1(VALU_DEP_4)
	v_ashrrev_i32_e32 v143, 31, v142
	v_add_nc_u32_e32 v74, s6, v161
	v_lshlrev_b64_e32 v[49:50], 3, v[48:49]
	s_delay_alu instid0(VALU_DEP_4) | instskip(NEXT) | instid1(VALU_DEP_4)
	v_lshlrev_b64_e32 v[56:57], 3, v[161:162]
	v_lshlrev_b64_e32 v[60:61], 3, v[142:143]
	s_delay_alu instid0(VALU_DEP_4) | instskip(NEXT) | instid1(VALU_DEP_1)
	v_ashrrev_i32_e32 v75, 31, v74
	v_lshlrev_b64_e32 v[74:75], 3, v[74:75]
	v_mul_f64_e32 v[14:15], s[0:1], v[14:15]
	s_delay_alu instid0(VALU_DEP_1) | instskip(SKIP_2) | instid1(VALU_DEP_2)
	v_fma_f64 v[14:15], v[30:31], s[4:5], -v[14:15]
	v_add3_u32 v30, v104, v11, s6
	v_dual_mov_b32 v104, v138 :: v_dual_mov_b32 v105, v139
	v_ashrrev_i32_e32 v31, 31, v30
	s_delay_alu instid0(VALU_DEP_1) | instskip(SKIP_1) | instid1(VALU_DEP_2)
	v_lshlrev_b64_e32 v[34:35], 3, v[30:31]
	v_add_nc_u32_e32 v30, s6, v30
	v_add_co_u32 v34, vcc_lo, s12, v34
	s_wait_alu 0xfffd
	s_delay_alu instid0(VALU_DEP_3)
	v_add_co_ci_u32_e64 v35, null, s13, v35, vcc_lo
	v_add_co_u32 v49, vcc_lo, s12, v49
	s_wait_alu 0xfffd
	v_add_co_ci_u32_e64 v50, null, s13, v50, vcc_lo
	v_add_co_u32 v56, vcc_lo, s12, v56
	s_wait_alu 0xfffd
	;; [unrolled: 3-line block ×3, first 2 shown]
	v_add_co_ci_u32_e64 v61, null, s13, v61, vcc_lo
	s_clause 0x3
	global_load_b64 v[64:65], v[34:35], off
	global_load_b64 v[49:50], v[49:50], off
	global_load_b64 v[34:35], v[56:57], off
	global_load_b64 v[56:57], v[60:61], off
	scratch_load_b32 v11, off, off offset:164 th:TH_LOAD_LU ; 4-byte Folded Reload
	v_ashrrev_i32_e32 v31, 31, v30
	s_delay_alu instid0(VALU_DEP_1)
	v_lshlrev_b64_e32 v[30:31], 3, v[30:31]
	s_wait_loadcnt 0x4
	v_add_f64_e64 v[2:3], v[2:3], -v[64:65]
	s_wait_loadcnt 0x3
	v_add_f64_e64 v[60:61], v[64:65], -v[49:50]
	;; [unrolled: 2-line block ×4, first 2 shown]
	s_wait_loadcnt 0x0
	s_wait_alu 0xfffe
	v_add_nc_u32_e32 v188, s7, v11
	v_add_f64_e64 v[26:27], v[26:27], -v[49:50]
	v_add_f64_e64 v[6:7], v[6:7], -v[56:57]
	v_add_nc_u32_e32 v64, s6, v48
	s_delay_alu instid0(VALU_DEP_4) | instskip(NEXT) | instid1(VALU_DEP_2)
	v_ashrrev_i32_e32 v189, 31, v188
	v_ashrrev_i32_e32 v65, 31, v64
	s_delay_alu instid0(VALU_DEP_1) | instskip(SKIP_2) | instid1(VALU_DEP_2)
	v_lshlrev_b64_e32 v[64:65], 3, v[64:65]
	v_mul_f64_e32 v[60:61], s[0:1], v[60:61]
	v_fma_f64 v[0:1], v[4:5], s[4:5], -v[0:1]
	v_fma_f64 v[60:61], v[68:69], s[4:5], -v[60:61]
	v_lshlrev_b64_e32 v[68:69], 3, v[188:189]
	s_delay_alu instid0(VALU_DEP_1) | instskip(SKIP_1) | instid1(VALU_DEP_2)
	v_add_co_u32 v68, vcc_lo, s18, v68
	s_wait_alu 0xfffd
	v_add_co_ci_u32_e64 v69, null, s19, v69, vcc_lo
	global_load_b64 v[4:5], v[68:69], off
	s_clause 0x6
	scratch_load_b64 v[72:73], off, off offset:176 th:TH_LOAD_LU
	scratch_load_b64 v[76:77], off, off offset:168 th:TH_LOAD_LU
	;; [unrolled: 1-line block ×6, first 2 shown]
	scratch_load_b32 v11, off, off offset:112 th:TH_LOAD_LU
	v_mul_f64_e32 v[68:69], v[104:105], v[36:37]
	s_delay_alu instid0(VALU_DEP_1) | instskip(NEXT) | instid1(VALU_DEP_1)
	v_mul_f64_e32 v[96:97], v[68:69], v[112:113]
	v_mul_f64_e32 v[14:15], v[96:97], v[14:15]
	s_delay_alu instid0(VALU_DEP_1)
	v_mul_f64_e32 v[138:139], v[116:117], v[14:15]
	s_wait_loadcnt 0x6
	v_mul_f64_e32 v[4:5], v[72:73], v[4:5]
	s_wait_loadcnt 0x3
	;; [unrolled: 2-line block ×4, first 2 shown]
	v_add_nc_u32_e32 v14, s7, v11
	s_delay_alu instid0(VALU_DEP_1) | instskip(NEXT) | instid1(VALU_DEP_1)
	v_ashrrev_i32_e32 v15, 31, v14
	v_lshlrev_b64_e32 v[36:37], 3, v[14:15]
	v_subrev_nc_u32_e32 v14, s6, v14
	s_delay_alu instid0(VALU_DEP_2) | instskip(SKIP_1) | instid1(VALU_DEP_3)
	v_add_co_u32 v36, vcc_lo, s18, v36
	s_wait_alu 0xfffd
	v_add_co_ci_u32_e64 v37, null, s19, v37, vcc_lo
	s_delay_alu instid0(VALU_DEP_3) | instskip(NEXT) | instid1(VALU_DEP_1)
	v_ashrrev_i32_e32 v15, 31, v14
	v_lshlrev_b64_e32 v[14:15], 3, v[14:15]
	v_mul_f64_e32 v[4:5], v[76:77], v[4:5]
	v_mul_f64_e32 v[98:99], v[34:35], v[134:135]
	;; [unrolled: 1-line block ×3, first 2 shown]
	global_load_b64 v[36:37], v[36:37], off
	s_clause 0x1
	scratch_load_b64 v[70:71], off, off offset:140 th:TH_LOAD_LU
	scratch_load_b32 v11, off, off offset:108 th:TH_LOAD_LU
	v_mul_f64_e32 v[0:1], v[0:1], v[4:5]
	v_mul_f64_e32 v[68:69], v[98:99], v[186:187]
	;; [unrolled: 1-line block ×4, first 2 shown]
	s_delay_alu instid0(VALU_DEP_4)
	v_mul_f64_e32 v[185:186], v[118:119], v[0:1]
	v_add_f64_e64 v[0:1], v[169:170], -v[182:183]
	v_mul_f64_e32 v[173:174], v[116:117], v[68:69]
	scratch_load_b64 v[68:69], off, off offset:132 th:TH_LOAD_LU ; 8-byte Folded Reload
	v_fma_f64 v[18:19], v[40:41], v[52:53], v[18:19]
	v_mul_f64_e32 v[0:1], s[0:1], v[0:1]
	s_delay_alu instid0(VALU_DEP_1) | instskip(SKIP_1) | instid1(VALU_DEP_1)
	v_fma_f64 v[0:1], v[26:27], s[4:5], -v[0:1]
	v_add_f64_e64 v[26:27], v[167:168], -v[180:181]
	v_mul_f64_e32 v[26:27], s[0:1], v[26:27]
	s_delay_alu instid0(VALU_DEP_1) | instskip(SKIP_4) | instid1(VALU_DEP_1)
	v_fma_f64 v[6:7], v[6:7], s[4:5], -v[26:27]
	s_wait_loadcnt 0x2
	v_mul_f64_e32 v[36:37], v[70:71], v[36:37]
	s_wait_loadcnt 0x1
	v_add_nc_u32_e32 v166, s7, v11
	v_ashrrev_i32_e32 v167, 31, v166
	s_wait_loadcnt 0x0
	s_delay_alu instid0(VALU_DEP_3) | instskip(NEXT) | instid1(VALU_DEP_1)
	v_mul_f64_e32 v[36:37], v[68:69], v[36:37]
	v_mul_f64_e32 v[0:1], v[0:1], v[36:37]
	s_delay_alu instid0(VALU_DEP_3) | instskip(NEXT) | instid1(VALU_DEP_1)
	v_lshlrev_b64_e32 v[36:37], 3, v[166:167]
	v_add_co_u32 v36, vcc_lo, s18, v36
	s_wait_alu 0xfffd
	s_delay_alu instid0(VALU_DEP_2)
	v_add_co_ci_u32_e64 v37, null, s19, v37, vcc_lo
	global_load_b64 v[26:27], v[36:37], off
	s_clause 0x3
	scratch_load_b64 v[82:83], off, off offset:124 th:TH_LOAD_LU
	scratch_load_b64 v[80:81], off, off offset:116 th:TH_LOAD_LU
	scratch_load_b128 v[36:39], off, off offset:148 th:TH_LOAD_LU
	scratch_load_b32 v11, off, off offset:248 th:TH_LOAD_LU
	s_wait_loadcnt 0x3
	v_mul_f64_e32 v[26:27], v[82:83], v[26:27]
	s_wait_loadcnt 0x0
	v_add_nc_u32_e32 v49, s7, v11
	v_mul_f64_e32 v[4:5], v[146:147], v[92:93]
	v_ashrrev_i32_e32 v11, 31, v10
	s_delay_alu instid0(VALU_DEP_3) | instskip(NEXT) | instid1(VALU_DEP_2)
	v_ashrrev_i32_e32 v50, 31, v49
	v_lshlrev_b64_e32 v[10:11], 3, v[10:11]
	s_delay_alu instid0(VALU_DEP_2) | instskip(SKIP_2) | instid1(VALU_DEP_2)
	v_lshlrev_b64_e32 v[50:51], 3, v[49:50]
	v_mul_f64_e32 v[26:27], v[80:81], v[26:27]
	v_mul_f64_e32 v[100:101], v[4:5], v[122:123]
	;; [unrolled: 1-line block ×4, first 2 shown]
	v_add_f64_e64 v[36:37], v[163:164], -v[176:177]
	v_add_nc_u32_e32 v0, s6, v160
	v_mul_f64_e32 v[4:5], v[100:101], v[171:172]
	s_delay_alu instid0(VALU_DEP_2) | instskip(NEXT) | instid1(VALU_DEP_1)
	v_ashrrev_i32_e32 v1, 31, v0
	v_lshlrev_b64_e32 v[0:1], 3, v[0:1]
	s_delay_alu instid0(VALU_DEP_1) | instskip(SKIP_1) | instid1(VALU_DEP_2)
	v_add_co_u32 v0, vcc_lo, s12, v0
	s_wait_alu 0xfffd
	v_add_co_ci_u32_e64 v1, null, s13, v1, vcc_lo
	v_mul_f64_e32 v[6:7], v[38:39], v[6:7]
	v_add_nc_u32_e32 v38, s6, v175
	v_mul_f64_e32 v[36:37], s[0:1], v[36:37]
	v_mul_f64_e32 v[26:27], v[90:91], v[26:27]
	;; [unrolled: 1-line block ×4, first 2 shown]
	v_ashrrev_i32_e32 v39, 31, v38
	s_delay_alu instid0(VALU_DEP_1) | instskip(NEXT) | instid1(VALU_DEP_1)
	v_lshlrev_b64_e32 v[38:39], 3, v[38:39]
	v_add_co_u32 v38, vcc_lo, s12, v38
	s_wait_alu 0xfffd
	s_delay_alu instid0(VALU_DEP_2)
	v_add_co_ci_u32_e64 v39, null, s13, v39, vcc_lo
	v_add_co_u32 v50, vcc_lo, s18, v50
	s_wait_alu 0xfffd
	v_add_co_ci_u32_e64 v51, null, s19, v51, vcc_lo
	v_mul_f64_e32 v[6:7], v[90:91], v[6:7]
	v_fma_f64 v[2:3], v[2:3], s[4:5], -v[36:37]
	v_subrev_nc_u32_e32 v36, s6, v49
	global_load_b64 v[49:50], v[50:51], off
	scratch_load_b64 v[56:57], off, off offset:240 th:TH_LOAD_LU ; 8-byte Folded Reload
	v_ashrrev_i32_e32 v37, 31, v36
	s_delay_alu instid0(VALU_DEP_1) | instskip(NEXT) | instid1(VALU_DEP_1)
	v_lshlrev_b64_e32 v[36:37], 3, v[36:37]
	v_add_co_u32 v36, vcc_lo, s18, v36
	s_wait_alu 0xfffd
	s_delay_alu instid0(VALU_DEP_2)
	v_add_co_ci_u32_e64 v37, null, s19, v37, vcc_lo
	global_load_b64 v[36:37], v[36:37], off
	s_wait_loadcnt 0x1
	v_mul_f64_e32 v[49:50], v[56:57], v[49:50]
	s_wait_loadcnt 0x0
	v_mul_f64_e32 v[36:37], v[56:57], v[36:37]
	scratch_load_b64 v[56:57], off, off offset:292 th:TH_LOAD_LU ; 8-byte Folded Reload
	v_mul_f64_e32 v[49:50], v[132:133], v[49:50]
	v_mul_f64_e32 v[36:37], v[132:133], v[36:37]
	s_delay_alu instid0(VALU_DEP_2) | instskip(SKIP_1) | instid1(VALU_DEP_1)
	v_mul_f64_e32 v[2:3], v[2:3], v[49:50]
	v_add_nc_u32_e32 v49, s6, v184
	v_ashrrev_i32_e32 v50, 31, v49
	s_delay_alu instid0(VALU_DEP_1) | instskip(NEXT) | instid1(VALU_DEP_1)
	v_lshlrev_b64_e32 v[49:50], 3, v[49:50]
	v_add_co_u32 v49, vcc_lo, s12, v49
	s_wait_alu 0xfffd
	s_delay_alu instid0(VALU_DEP_2)
	v_add_co_ci_u32_e64 v50, null, s13, v50, vcc_lo
	v_add_co_u32 v30, vcc_lo, s12, v30
	s_wait_alu 0xfffd
	v_add_co_ci_u32_e64 v31, null, s13, v31, vcc_lo
	s_wait_loadcnt 0x0
	v_mul_f64_e32 v[2:3], v[56:57], v[2:3]
	s_clause 0x3
	global_load_b64 v[56:57], v[0:1], off
	global_load_b64 v[38:39], v[38:39], off
	;; [unrolled: 1-line block ×4, first 2 shown]
	v_mul_f64_e32 v[2:3], v[90:91], v[2:3]
	s_wait_loadcnt 0x2
	v_add_f64_e64 v[0:1], v[56:57], -v[38:39]
	s_wait_loadcnt 0x0
	v_add_f64_e64 v[60:61], v[49:50], -v[30:31]
	s_delay_alu instid0(VALU_DEP_2) | instskip(NEXT) | instid1(VALU_DEP_1)
	v_mul_f64_e32 v[0:1], s[0:1], v[0:1]
	v_fma_f64 v[0:1], v[60:61], s[4:5], -v[0:1]
	v_add_nc_u32_e32 v60, s6, v178
	s_delay_alu instid0(VALU_DEP_1) | instskip(NEXT) | instid1(VALU_DEP_1)
	v_ashrrev_i32_e32 v61, 31, v60
	v_lshlrev_b64_e32 v[60:61], 3, v[60:61]
	s_delay_alu instid0(VALU_DEP_4) | instskip(SKIP_2) | instid1(VALU_DEP_2)
	v_fma_f64 v[0:1], v[0:1], v[36:37], v[2:3]
	v_add_nc_u32_e32 v2, s6, v158
	v_add_nc_u32_e32 v36, s6, v165
	v_ashrrev_i32_e32 v3, 31, v2
	s_delay_alu instid0(VALU_DEP_2) | instskip(NEXT) | instid1(VALU_DEP_2)
	v_ashrrev_i32_e32 v37, 31, v36
	v_lshlrev_b64_e32 v[2:3], 3, v[2:3]
	s_delay_alu instid0(VALU_DEP_2) | instskip(NEXT) | instid1(VALU_DEP_2)
	v_lshlrev_b64_e32 v[36:37], 3, v[36:37]
	v_add_co_u32 v2, vcc_lo, s12, v2
	s_wait_alu 0xfffd
	s_delay_alu instid0(VALU_DEP_3)
	v_add_co_ci_u32_e64 v3, null, s13, v3, vcc_lo
	v_add_co_u32 v14, vcc_lo, s18, v14
	s_wait_alu 0xfffd
	v_add_co_ci_u32_e64 v15, null, s19, v15, vcc_lo
	v_add_co_u32 v36, vcc_lo, s12, v36
	s_wait_alu 0xfffd
	v_add_co_ci_u32_e64 v37, null, s13, v37, vcc_lo
	global_load_b64 v[14:15], v[14:15], off
	v_add_co_u32 v60, vcc_lo, s12, v60
	s_wait_alu 0xfffd
	v_add_co_ci_u32_e64 v61, null, s13, v61, vcc_lo
	v_add_co_u32 v64, vcc_lo, s12, v64
	s_wait_alu 0xfffd
	v_add_co_ci_u32_e64 v65, null, s13, v65, vcc_lo
	s_wait_loadcnt 0x0
	v_mul_f64_e32 v[14:15], v[70:71], v[14:15]
	s_delay_alu instid0(VALU_DEP_1)
	v_mul_f64_e32 v[14:15], v[68:69], v[14:15]
	s_clause 0x3
	global_load_b64 v[68:69], v[2:3], off
	global_load_b64 v[36:37], v[36:37], off
	global_load_b64 v[60:61], v[60:61], off
	global_load_b64 v[64:65], v[64:65], off
	s_wait_loadcnt 0x3
	v_add_f64_e64 v[56:57], v[56:57], -v[68:69]
	s_wait_loadcnt 0x2
	v_add_f64_e64 v[2:3], v[68:69], -v[36:37]
	v_add_f64_e64 v[36:37], v[38:39], -v[36:37]
	s_wait_loadcnt 0x0
	v_add_f64_e64 v[70:71], v[60:61], -v[64:65]
	v_add_f64_e64 v[48:49], v[49:50], -v[60:61]
	v_add_nc_u32_e32 v50, s6, v142
	v_add_f64_e64 v[30:31], v[30:31], -v[64:65]
	s_delay_alu instid0(VALU_DEP_2) | instskip(NEXT) | instid1(VALU_DEP_1)
	v_ashrrev_i32_e32 v51, 31, v50
	v_lshlrev_b64_e32 v[50:51], 3, v[50:51]
	v_mul_f64_e32 v[56:57], s[0:1], v[56:57]
	v_mul_f64_e32 v[2:3], s[0:1], v[2:3]
	;; [unrolled: 1-line block ×5, first 2 shown]
	s_delay_alu instid0(VALU_DEP_4) | instskip(SKIP_1) | instid1(VALU_DEP_1)
	v_fma_f64 v[2:3], v[70:71], s[4:5], -v[2:3]
	v_add_nc_u32_e32 v70, s6, v140
	v_ashrrev_i32_e32 v71, 31, v70
	s_delay_alu instid0(VALU_DEP_1) | instskip(NEXT) | instid1(VALU_DEP_4)
	v_lshlrev_b64_e32 v[70:71], 3, v[70:71]
	v_fma_f64 v[2:3], v[2:3], v[14:15], v[26:27]
	v_add_nc_u32_e32 v14, s6, v156
	v_subrev_nc_u32_e32 v26, s6, v188
	s_delay_alu instid0(VALU_DEP_2) | instskip(NEXT) | instid1(VALU_DEP_2)
	v_ashrrev_i32_e32 v15, 31, v14
	v_ashrrev_i32_e32 v27, 31, v26
	s_delay_alu instid0(VALU_DEP_2) | instskip(NEXT) | instid1(VALU_DEP_2)
	v_lshlrev_b64_e32 v[14:15], 3, v[14:15]
	v_lshlrev_b64_e32 v[26:27], 3, v[26:27]
	s_delay_alu instid0(VALU_DEP_2) | instskip(SKIP_1) | instid1(VALU_DEP_3)
	v_add_co_u32 v14, vcc_lo, s12, v14
	s_wait_alu 0xfffd
	v_add_co_ci_u32_e64 v15, null, s13, v15, vcc_lo
	s_delay_alu instid0(VALU_DEP_3)
	v_add_co_u32 v26, vcc_lo, s18, v26
	s_wait_alu 0xfffd
	v_add_co_ci_u32_e64 v27, null, s19, v27, vcc_lo
	v_add_co_u32 v70, vcc_lo, s12, v70
	s_wait_alu 0xfffd
	v_add_co_ci_u32_e64 v71, null, s13, v71, vcc_lo
	global_load_b64 v[26:27], v[26:27], off
	v_add_f64_e64 v[0:1], v[0:1], -v[2:3]
	s_delay_alu instid0(VALU_DEP_1) | instskip(SKIP_3) | instid1(VALU_DEP_1)
	v_mul_f64_e32 v[0:1], s[0:1], v[0:1]
	s_wait_loadcnt 0x0
	v_mul_f64_e32 v[26:27], v[72:73], v[26:27]
	v_add_nc_u32_e32 v72, s6, v154
	v_ashrrev_i32_e32 v73, 31, v72
	s_delay_alu instid0(VALU_DEP_1) | instskip(NEXT) | instid1(VALU_DEP_1)
	v_lshlrev_b64_e32 v[72:73], 3, v[72:73]
	v_add_co_u32 v72, vcc_lo, s12, v72
	s_wait_alu 0xfffd
	s_delay_alu instid0(VALU_DEP_2)
	v_add_co_ci_u32_e64 v73, null, s13, v73, vcc_lo
	v_add_co_u32 v74, vcc_lo, s12, v74
	s_wait_alu 0xfffd
	v_add_co_ci_u32_e64 v75, null, s13, v75, vcc_lo
	s_clause 0x3
	global_load_b64 v[14:15], v[14:15], off
	global_load_b64 v[70:71], v[70:71], off
	;; [unrolled: 1-line block ×4, first 2 shown]
	v_add_co_u32 v10, vcc_lo, s12, v10
	s_wait_alu 0xfffd
	v_add_co_ci_u32_e64 v11, null, s13, v11, vcc_lo
	v_mul_f64_e32 v[26:27], v[76:77], v[26:27]
	s_wait_loadcnt 0x2
	v_add_f64_e64 v[76:77], v[14:15], -v[70:71]
	s_wait_loadcnt 0x0
	v_add_f64_e64 v[78:79], v[72:73], -v[74:75]
	s_delay_alu instid0(VALU_DEP_2) | instskip(NEXT) | instid1(VALU_DEP_1)
	v_mul_f64_e32 v[76:77], s[0:1], v[76:77]
	v_fma_f64 v[76:77], v[78:79], s[4:5], -v[76:77]
	v_mul_f64_e32 v[78:79], v[90:91], v[185:186]
	s_delay_alu instid0(VALU_DEP_1)
	v_fma_f64 v[92:93], v[76:77], v[26:27], v[78:79]
	s_clause 0x1
	scratch_load_b64 v[26:27], off, off offset:224 th:TH_LOAD_LU
	scratch_load_b64 v[76:77], off, off offset:232 th:TH_LOAD_LU
	global_load_b64 v[10:11], v[10:11], off
	s_wait_loadcnt 0x1
	v_mul_f64_e32 v[26:27], v[26:27], v[76:77]
	s_wait_loadcnt 0x0
	v_add_f64_e64 v[14:15], v[14:15], -v[10:11]
	s_delay_alu instid0(VALU_DEP_2) | instskip(NEXT) | instid1(VALU_DEP_2)
	v_mul_f64_e32 v[26:27], v[26:27], v[122:123]
	v_fma_f64 v[14:15], v[14:15], s[4:5], -v[56:57]
	v_add_nc_u32_e32 v56, s6, v67
	s_delay_alu instid0(VALU_DEP_1) | instskip(NEXT) | instid1(VALU_DEP_1)
	v_ashrrev_i32_e32 v57, 31, v56
	v_lshlrev_b64_e32 v[56:57], 3, v[56:57]
	s_delay_alu instid0(VALU_DEP_1) | instskip(SKIP_1) | instid1(VALU_DEP_2)
	v_add_co_u32 v56, vcc_lo, s12, v56
	s_wait_alu 0xfffd
	v_add_co_ci_u32_e64 v57, null, s13, v57, vcc_lo
	v_mul_f64_e32 v[14:15], v[26:27], v[14:15]
	s_clause 0x1
	scratch_load_b64 v[26:27], off, off offset:192 th:TH_LOAD_LU
	scratch_load_b64 v[66:67], off, off offset:200 th:TH_LOAD_LU
	global_load_b64 v[38:39], v[56:57], off
	v_fma_f64 v[14:15], v[90:91], v[171:172], v[14:15]
	s_wait_loadcnt 0x1
	v_mul_f64_e32 v[26:27], v[26:27], v[66:67]
	s_wait_loadcnt 0x0
	v_add_f64_e64 v[56:57], v[70:71], -v[38:39]
	v_add_f64_e64 v[10:11], v[10:11], -v[38:39]
	s_delay_alu instid0(VALU_DEP_3) | instskip(NEXT) | instid1(VALU_DEP_3)
	v_mul_f64_e32 v[26:27], v[26:27], v[134:135]
	v_fma_f64 v[36:37], v[56:57], s[4:5], -v[36:37]
	s_delay_alu instid0(VALU_DEP_3) | instskip(NEXT) | instid1(VALU_DEP_2)
	v_mul_f64_e32 v[10:11], s[0:1], v[10:11]
	v_mul_f64_e32 v[26:27], v[26:27], v[36:37]
	s_clause 0x1
	scratch_load_b64 v[36:37], off, off offset:208 th:TH_LOAD_LU
	scratch_load_b64 v[56:57], off, off offset:216 th:TH_LOAD_LU
	v_fma_f64 v[26:27], v[90:91], v[173:174], v[26:27]
	s_wait_loadcnt 0x0
	v_mul_f64_e32 v[36:37], v[36:37], v[56:57]
	v_add_nc_u32_e32 v56, s6, v141
	s_delay_alu instid0(VALU_DEP_1) | instskip(NEXT) | instid1(VALU_DEP_1)
	v_ashrrev_i32_e32 v57, 31, v56
	v_lshlrev_b64_e32 v[56:57], 3, v[56:57]
	s_delay_alu instid0(VALU_DEP_1) | instskip(SKIP_1) | instid1(VALU_DEP_2)
	v_add_co_u32 v56, vcc_lo, s12, v56
	s_wait_alu 0xfffd
	v_add_co_ci_u32_e64 v57, null, s13, v57, vcc_lo
	v_add_co_u32 v50, vcc_lo, s12, v50
	s_wait_alu 0xfffd
	v_add_co_ci_u32_e64 v51, null, s13, v51, vcc_lo
	global_load_b64 v[56:57], v[56:57], off
	v_mul_f64_e32 v[36:37], v[36:37], v[112:113]
	s_wait_loadcnt 0x0
	v_add_f64_e64 v[60:61], v[72:73], -v[56:57]
	s_delay_alu instid0(VALU_DEP_1)
	v_fma_f64 v[48:49], v[60:61], s[4:5], -v[48:49]
	s_clause 0x1
	scratch_load_b64 v[60:61], off, off offset:184 th:TH_LOAD_LU
	scratch_load_b64 v[66:67], off, off th:TH_LOAD_LU
	global_load_b64 v[50:51], v[50:51], off
	v_mul_f64_e32 v[36:37], v[36:37], v[48:49]
	v_subrev_nc_u32_e32 v48, s6, v166
	s_delay_alu instid0(VALU_DEP_1) | instskip(NEXT) | instid1(VALU_DEP_1)
	v_ashrrev_i32_e32 v49, 31, v48
	v_lshlrev_b64_e32 v[48:49], 3, v[48:49]
	s_delay_alu instid0(VALU_DEP_1) | instskip(SKIP_1) | instid1(VALU_DEP_2)
	v_add_co_u32 v48, vcc_lo, s18, v48
	s_wait_alu 0xfffd
	v_add_co_ci_u32_e64 v49, null, s19, v49, vcc_lo
	global_load_b64 v[48:49], v[48:49], off
	v_fma_f64 v[36:37], v[90:91], v[138:139], v[36:37]
	s_wait_loadcnt 0x2
	v_mul_f64_e32 v[60:61], v[60:61], v[66:67]
	s_wait_loadcnt 0x1
	v_add_f64_e64 v[64:65], v[74:75], -v[50:51]
	v_add_f64_e64 v[38:39], v[56:57], -v[50:51]
	v_mul_f64_e32 v[50:51], s[0:1], v[152:153]
	s_delay_alu instid0(VALU_DEP_4) | instskip(NEXT) | instid1(VALU_DEP_4)
	v_mul_f64_e32 v[60:61], v[60:61], v[42:43]
	v_fma_f64 v[30:31], v[64:65], s[4:5], -v[30:31]
	s_delay_alu instid0(VALU_DEP_4) | instskip(NEXT) | instid1(VALU_DEP_4)
	v_fma_f64 v[10:11], v[38:39], s[4:5], -v[10:11]
	v_fma_f64 v[50:51], v[108:109], s[4:5], -v[50:51]
	s_wait_loadcnt 0x0
	v_mul_f64_e32 v[48:49], v[82:83], v[48:49]
	s_delay_alu instid0(VALU_DEP_4) | instskip(SKIP_1) | instid1(VALU_DEP_2)
	v_mul_f64_e32 v[30:31], v[60:61], v[30:31]
	v_mul_f64_e32 v[60:61], s[0:1], v[124:125]
	v_fma_f64 v[4:5], v[90:91], v[4:5], v[30:31]
	s_delay_alu instid0(VALU_DEP_4) | instskip(NEXT) | instid1(VALU_DEP_3)
	v_mul_f64_e32 v[30:31], v[80:81], v[48:49]
	v_fma_f64 v[58:59], v[58:59], s[4:5], -v[60:61]
	v_mul_f64_e32 v[60:61], s[0:1], v[86:87]
	v_mul_f64_e32 v[48:49], s[0:1], v[128:129]
	v_add_f64_e64 v[4:5], v[36:37], -v[4:5]
	v_fma_f64 v[6:7], v[10:11], v[30:31], v[6:7]
	s_clause 0x2
	scratch_load_b64 v[30:31], off, off offset:80 th:TH_LOAD_LU
	scratch_load_b64 v[38:39], off, off offset:88 th:TH_LOAD_LU
	;; [unrolled: 1-line block ×3, first 2 shown]
	v_fma_f64 v[20:21], v[20:21], s[4:5], -v[60:61]
	s_clause 0x1
	scratch_load_b64 v[60:61], off, off offset:64 th:TH_LOAD_LU
	scratch_load_b64 v[34:35], off, off offset:48 th:TH_LOAD_LU
	v_mul_f64_e32 v[10:11], s[0:1], v[130:131]
	v_fma_f64 v[48:49], v[126:127], s[4:5], -v[48:49]
	v_mul_f64_e32 v[58:59], v[96:97], v[58:59]
	v_add_f64_e64 v[2:3], v[92:93], -v[6:7]
	s_delay_alu instid0(VALU_DEP_4) | instskip(NEXT) | instid1(VALU_DEP_4)
	v_fma_f64 v[10:11], v[62:63], s[4:5], -v[10:11]
	v_mul_f64_e32 v[48:49], v[98:99], v[48:49]
	s_delay_alu instid0(VALU_DEP_3) | instskip(SKIP_2) | instid1(VALU_DEP_1)
	v_fma_f64 v[0:1], v[2:3], s[4:5], -v[0:1]
	scratch_load_b64 v[2:3], off, off offset:16 th:TH_LOAD_LU ; 8-byte Folded Reload
	v_mul_f64_e32 v[10:11], v[100:101], v[10:11]
	v_fma_f64 v[10:11], v[40:41], v[120:121], v[10:11]
	s_wait_loadcnt 0x4
	v_fma_f64 v[30:31], v[40:41], v[38:39], v[30:31]
	scratch_load_b64 v[38:39], off, off offset:72 th:TH_LOAD_LU ; 8-byte Folded Reload
	s_wait_loadcnt 0x4
	v_mul_f64_e32 v[56:57], v[94:95], v[56:57]
	s_wait_loadcnt 0x3
	v_mul_f64_e32 v[60:61], v[104:105], v[60:61]
	;; [unrolled: 2-line block ×3, first 2 shown]
	s_delay_alu instid0(VALU_DEP_3) | instskip(NEXT) | instid1(VALU_DEP_3)
	v_mul_f64_e32 v[56:57], v[56:57], v[134:135]
	v_mul_f64_e32 v[60:61], v[60:61], v[112:113]
	s_delay_alu instid0(VALU_DEP_3)
	v_mul_f64_e32 v[28:29], v[34:35], v[42:43]
	scratch_load_b64 v[34:35], off, off offset:100 th:TH_LOAD_LU ; 8-byte Folded Reload
	v_fma_f64 v[42:43], v[40:41], v[114:115], v[48:49]
	s_wait_loadcnt 0x2
	v_add_co_u32 v2, vcc_lo, s2, v2
	v_mul_f64_e32 v[20:21], v[56:57], v[20:21]
	v_mul_f64_e32 v[22:23], v[60:61], v[22:23]
	v_mul_f64_e32 v[16:17], v[28:29], v[16:17]
	s_wait_alu 0xfffd
	v_add_co_ci_u32_e64 v3, null, s3, v3, vcc_lo
	s_delay_alu instid0(VALU_DEP_4) | instskip(NEXT) | instid1(VALU_DEP_3)
	v_fma_f64 v[20:21], v[40:41], v[20:21], v[42:43]
	v_fma_f64 v[16:17], v[40:41], v[16:17], v[18:19]
	v_mul_f64_e32 v[18:19], s[0:1], v[46:47]
	s_delay_alu instid0(VALU_DEP_1) | instskip(SKIP_2) | instid1(VALU_DEP_1)
	v_fma_f64 v[18:19], v[110:111], s[4:5], -v[18:19]
	s_wait_loadcnt 0x1
	v_mul_f64_e32 v[38:39], v[146:147], v[38:39]
	v_mul_f64_e32 v[38:39], v[38:39], v[122:123]
	s_wait_loadcnt 0x0
	v_mul_f64_e32 v[34:35], s[0:1], v[34:35]
	s_delay_alu instid0(VALU_DEP_2) | instskip(NEXT) | instid1(VALU_DEP_2)
	v_mul_f64_e32 v[38:39], v[38:39], v[50:51]
	v_fma_f64 v[34:35], v[44:45], s[4:5], -v[34:35]
	v_fma_f64 v[44:45], v[40:41], v[54:55], v[58:59]
	s_delay_alu instid0(VALU_DEP_3) | instskip(NEXT) | instid1(VALU_DEP_3)
	v_fma_f64 v[10:11], v[40:41], v[38:39], v[10:11]
	v_add_f64_e32 v[28:29], v[30:31], v[34:35]
	s_delay_alu instid0(VALU_DEP_3) | instskip(NEXT) | instid1(VALU_DEP_3)
	v_fma_f64 v[22:23], v[40:41], v[22:23], v[44:45]
	v_add_f64_e64 v[10:11], v[10:11], -v[20:21]
	s_delay_alu instid0(VALU_DEP_3) | instskip(NEXT) | instid1(VALU_DEP_3)
	v_add_f64_e32 v[18:19], v[18:19], v[28:29]
	v_add_f64_e64 v[16:17], v[22:23], -v[16:17]
	s_delay_alu instid0(VALU_DEP_3) | instskip(NEXT) | instid1(VALU_DEP_1)
	v_mul_f64_e32 v[10:11], s[0:1], v[10:11]
	v_fma_f64 v[10:11], v[16:17], s[4:5], -v[10:11]
	s_delay_alu instid0(VALU_DEP_1) | instskip(NEXT) | instid1(VALU_DEP_1)
	v_add_f64_e32 v[10:11], v[18:19], v[10:11]
	v_fma_f64 v[8:9], v[40:41], v[8:9], v[10:11]
	v_add_f64_e64 v[10:11], v[14:15], -v[26:27]
	s_delay_alu instid0(VALU_DEP_1) | instskip(NEXT) | instid1(VALU_DEP_1)
	v_mul_f64_e32 v[10:11], s[0:1], v[10:11]
	v_fma_f64 v[4:5], v[4:5], s[4:5], -v[10:11]
	s_delay_alu instid0(VALU_DEP_1) | instskip(NEXT) | instid1(VALU_DEP_1)
	v_add_f64_e32 v[4:5], v[8:9], v[4:5]
	v_add_f64_e32 v[0:1], v[4:5], v[0:1]
	global_load_b64 v[4:5], v[2:3], off
	s_clause 0x2
	scratch_load_b64 v[6:7], off, off offset:24 th:TH_LOAD_LU
	scratch_load_b64 v[8:9], off, off offset:32 th:TH_LOAD_LU
	;; [unrolled: 1-line block ×3, first 2 shown]
	v_mul_f64_e32 v[0:1], s[10:11], v[0:1]
	s_wait_loadcnt 0x0
	v_div_fixup_f64 v[6:7], v[10:11], v[8:9], v[6:7]
	s_delay_alu instid0(VALU_DEP_1) | instskip(NEXT) | instid1(VALU_DEP_1)
	v_mul_f64_e32 v[0:1], v[6:7], v[0:1]
	v_fma_f64 v[0:1], s[8:9], v[4:5], v[0:1]
	global_store_b64 v[2:3], v[0:1], off
.LBB1_2:
	s_nop 0
	s_sendmsg sendmsg(MSG_DEALLOC_VGPRS)
	s_endpgm
	.section	.rodata,"a",@progbits
	.p2align	6, 0x0
	.amdhsa_kernel _Z7kernel2iiiiiiiiiiiiddPKdS0_S0_S0_S0_PdS0_S0_S0_S0_S0_S0_S0_
		.amdhsa_group_segment_fixed_size 0
		.amdhsa_private_segment_fixed_size 436
		.amdhsa_kernarg_size 424
		.amdhsa_user_sgpr_count 2
		.amdhsa_user_sgpr_dispatch_ptr 0
		.amdhsa_user_sgpr_queue_ptr 0
		.amdhsa_user_sgpr_kernarg_segment_ptr 1
		.amdhsa_user_sgpr_dispatch_id 0
		.amdhsa_user_sgpr_private_segment_size 0
		.amdhsa_wavefront_size32 1
		.amdhsa_uses_dynamic_stack 0
		.amdhsa_enable_private_segment 1
		.amdhsa_system_sgpr_workgroup_id_x 1
		.amdhsa_system_sgpr_workgroup_id_y 1
		.amdhsa_system_sgpr_workgroup_id_z 1
		.amdhsa_system_sgpr_workgroup_info 0
		.amdhsa_system_vgpr_workitem_id 2
		.amdhsa_next_free_vgpr 192
		.amdhsa_next_free_sgpr 28
		.amdhsa_reserve_vcc 1
		.amdhsa_float_round_mode_32 0
		.amdhsa_float_round_mode_16_64 0
		.amdhsa_float_denorm_mode_32 3
		.amdhsa_float_denorm_mode_16_64 3
		.amdhsa_fp16_overflow 0
		.amdhsa_workgroup_processor_mode 1
		.amdhsa_memory_ordered 1
		.amdhsa_forward_progress 1
		.amdhsa_inst_pref_size 106
		.amdhsa_round_robin_scheduling 0
		.amdhsa_exception_fp_ieee_invalid_op 0
		.amdhsa_exception_fp_denorm_src 0
		.amdhsa_exception_fp_ieee_div_zero 0
		.amdhsa_exception_fp_ieee_overflow 0
		.amdhsa_exception_fp_ieee_underflow 0
		.amdhsa_exception_fp_ieee_inexact 0
		.amdhsa_exception_int_div_zero 0
	.end_amdhsa_kernel
	.text
.Lfunc_end1:
	.size	_Z7kernel2iiiiiiiiiiiiddPKdS0_S0_S0_S0_PdS0_S0_S0_S0_S0_S0_S0_, .Lfunc_end1-_Z7kernel2iiiiiiiiiiiiddPKdS0_S0_S0_S0_PdS0_S0_S0_S0_S0_S0_S0_
                                        ; -- End function
	.set _Z7kernel2iiiiiiiiiiiiddPKdS0_S0_S0_S0_PdS0_S0_S0_S0_S0_S0_S0_.num_vgpr, 192
	.set _Z7kernel2iiiiiiiiiiiiddPKdS0_S0_S0_S0_PdS0_S0_S0_S0_S0_S0_S0_.num_agpr, 0
	.set _Z7kernel2iiiiiiiiiiiiddPKdS0_S0_S0_S0_PdS0_S0_S0_S0_S0_S0_S0_.numbered_sgpr, 28
	.set _Z7kernel2iiiiiiiiiiiiddPKdS0_S0_S0_S0_PdS0_S0_S0_S0_S0_S0_S0_.num_named_barrier, 0
	.set _Z7kernel2iiiiiiiiiiiiddPKdS0_S0_S0_S0_PdS0_S0_S0_S0_S0_S0_S0_.private_seg_size, 436
	.set _Z7kernel2iiiiiiiiiiiiddPKdS0_S0_S0_S0_PdS0_S0_S0_S0_S0_S0_S0_.uses_vcc, 1
	.set _Z7kernel2iiiiiiiiiiiiddPKdS0_S0_S0_S0_PdS0_S0_S0_S0_S0_S0_S0_.uses_flat_scratch, 1
	.set _Z7kernel2iiiiiiiiiiiiddPKdS0_S0_S0_S0_PdS0_S0_S0_S0_S0_S0_S0_.has_dyn_sized_stack, 0
	.set _Z7kernel2iiiiiiiiiiiiddPKdS0_S0_S0_S0_PdS0_S0_S0_S0_S0_S0_S0_.has_recursion, 0
	.set _Z7kernel2iiiiiiiiiiiiddPKdS0_S0_S0_S0_PdS0_S0_S0_S0_S0_S0_S0_.has_indirect_call, 0
	.section	.AMDGPU.csdata,"",@progbits
; Kernel info:
; codeLenInByte = 13484
; TotalNumSgprs: 30
; NumVgprs: 192
; ScratchSize: 436
; MemoryBound: 0
; FloatMode: 240
; IeeeMode: 1
; LDSByteSize: 0 bytes/workgroup (compile time only)
; SGPRBlocks: 0
; VGPRBlocks: 23
; NumSGPRsForWavesPerEU: 30
; NumVGPRsForWavesPerEU: 192
; Occupancy: 8
; WaveLimiterHint : 0
; COMPUTE_PGM_RSRC2:SCRATCH_EN: 1
; COMPUTE_PGM_RSRC2:USER_SGPR: 2
; COMPUTE_PGM_RSRC2:TRAP_HANDLER: 0
; COMPUTE_PGM_RSRC2:TGID_X_EN: 1
; COMPUTE_PGM_RSRC2:TGID_Y_EN: 1
; COMPUTE_PGM_RSRC2:TGID_Z_EN: 1
; COMPUTE_PGM_RSRC2:TIDIG_COMP_CNT: 2
	.text
	.protected	_Z7kernel3iiiiiiiiiiiiddPKdS0_S0_S0_S0_PdS0_S0_S0_S0_S0_S0_S0_ ; -- Begin function _Z7kernel3iiiiiiiiiiiiddPKdS0_S0_S0_S0_PdS0_S0_S0_S0_S0_S0_S0_
	.globl	_Z7kernel3iiiiiiiiiiiiddPKdS0_S0_S0_S0_PdS0_S0_S0_S0_S0_S0_S0_
	.p2align	8
	.type	_Z7kernel3iiiiiiiiiiiiddPKdS0_S0_S0_S0_PdS0_S0_S0_S0_S0_S0_S0_,@function
_Z7kernel3iiiiiiiiiiiiddPKdS0_S0_S0_S0_PdS0_S0_S0_S0_S0_S0_S0_: ; @_Z7kernel3iiiiiiiiiiiiddPKdS0_S0_S0_S0_PdS0_S0_S0_S0_S0_S0_S0_
; %bb.0:
	s_clause 0x1
	s_load_b64 s[2:3], s[0:1], 0xb4
	s_load_b256 s[16:23], s[0:1], 0x0
	v_and_b32_e32 v1, 0x3ff, v0
	v_bfe_u32 v2, v0, 10, 10
	s_and_b32 s4, ttmp7, 0xffff
	v_bfe_u32 v0, v0, 20, 10
	s_lshr_b32 s5, ttmp7, 16
	s_wait_kmcnt 0x0
	s_and_b32 s6, s2, 0xffff
	s_lshr_b32 s2, s2, 16
	s_and_b32 s3, s3, 0xffff
	s_mul_i32 s6, ttmp9, s6
	s_mul_i32 s4, s4, s2
	s_mul_i32 s5, s5, s3
	v_add3_u32 v94, s6, s16, v1
	v_add3_u32 v4, s4, s18, v2
	;; [unrolled: 1-line block ×3, first 2 shown]
	s_delay_alu instid0(VALU_DEP_3) | instskip(NEXT) | instid1(VALU_DEP_3)
	v_cmp_gt_i32_e32 vcc_lo, s17, v94
	v_cmp_gt_i32_e64 s2, s19, v4
	s_delay_alu instid0(VALU_DEP_3) | instskip(SKIP_1) | instid1(SALU_CYCLE_1)
	v_cmp_gt_i32_e64 s3, s21, v0
	s_and_b32 s2, vcc_lo, s2
	s_and_b32 s2, s2, s3
	s_delay_alu instid0(SALU_CYCLE_1)
	s_and_saveexec_b32 s3, s2
	s_cbranch_execz .LBB2_2
; %bb.1:
	s_load_b256 s[4:11], s[0:1], 0x20
	s_sub_co_i32 s2, s23, s22
	v_add_nc_u32_e32 v1, -2, v0
	s_add_co_i32 s3, s2, 1
	s_not_b32 s2, s2
	v_mul_lo_u32 v7, v4, s3
	s_clause 0x1
	s_load_b256 s[12:19], s[0:1], 0x40
	s_load_b128 s[24:27], s[0:1], 0x98
	s_wait_kmcnt 0x0
	s_sub_co_i32 s5, s5, s4
	s_mul_i32 s2, s4, s2
	s_wait_alu 0xfffe
	s_add_co_i32 s20, s5, 1
	s_wait_alu 0xfffe
	s_mul_i32 s20, s20, s3
	s_wait_alu 0xfffe
	s_mul_i32 s5, s20, s6
	v_mul_lo_u32 v5, v1, s20
	s_wait_alu 0xfffe
	s_add_co_i32 s5, s22, s5
	v_mul_lo_u32 v88, v0, s20
	s_wait_alu 0xfffe
	s_sub_co_i32 s23, s2, s5
	s_delay_alu instid0(SALU_CYCLE_1) | instskip(NEXT) | instid1(VALU_DEP_3)
	v_add_nc_u32_e32 v9, s23, v94
	v_add_nc_u32_e32 v3, s20, v5
	s_delay_alu instid0(VALU_DEP_2) | instskip(NEXT) | instid1(VALU_DEP_2)
	v_add_nc_u32_e32 v175, v7, v9
	v_dual_mov_b32 v23, v5 :: v_dual_mov_b32 v8, v3
	s_delay_alu instid0(VALU_DEP_2) | instskip(SKIP_2) | instid1(VALU_DEP_1)
	v_add_nc_u32_e32 v1, v5, v175
	scratch_store_b32 off, v8, off offset:72 ; 4-byte Folded Spill
	v_ashrrev_i32_e32 v2, 31, v1
	v_lshlrev_b64_e32 v[1:2], 3, v[1:2]
	s_delay_alu instid0(VALU_DEP_1) | instskip(SKIP_2) | instid1(VALU_DEP_4)
	v_add_co_u32 v10, vcc_lo, s14, v1
	v_add_co_u32 v12, s2, s16, v1
	v_add_nc_u32_e32 v1, v3, v175
	v_add_co_ci_u32_e64 v11, null, s15, v2, vcc_lo
	s_wait_alu 0xf1ff
	v_add_co_ci_u32_e64 v13, null, s17, v2, s2
	s_delay_alu instid0(VALU_DEP_3) | instskip(SKIP_3) | instid1(VALU_DEP_1)
	v_ashrrev_i32_e32 v2, 31, v1
	s_sub_co_i32 s2, s7, s6
	s_wait_alu 0xfffe
	s_add_co_i32 s6, s2, 1
	v_lshlrev_b64_e32 v[1:2], 3, v[1:2]
	s_wait_alu 0xfffe
	s_mul_i32 s6, s6, s20
	s_wait_alu 0xfffe
	s_sub_co_i32 s5, s23, s6
	s_lshl_b32 s21, s6, 1
	s_wait_alu 0xfffe
	v_add_nc_u32_e32 v95, s5, v94
	v_add_co_u32 v14, vcc_lo, s14, v1
	s_wait_alu 0xfffd
	v_add_co_ci_u32_e64 v15, null, s15, v2, vcc_lo
	v_add_co_u32 v16, vcc_lo, s16, v1
	s_wait_alu 0xfffd
	v_add_co_ci_u32_e64 v17, null, s17, v2, vcc_lo
	v_lshl_add_u32 v2, s20, 1, v3
	v_add_nc_u32_e32 v121, v7, v95
	s_mul_i32 s7, s6, 3
	s_delay_alu instid0(VALU_DEP_2) | instskip(SKIP_1) | instid1(VALU_DEP_3)
	v_add_nc_u32_e32 v1, v2, v175
	v_mov_b32_e32 v22, v2
	v_add_nc_u32_e32 v120, v121, v88
	s_delay_alu instid0(VALU_DEP_3) | instskip(NEXT) | instid1(VALU_DEP_3)
	v_ashrrev_i32_e32 v2, 31, v1
	v_add_nc_u32_e32 v174, v22, v121
	s_delay_alu instid0(VALU_DEP_3) | instskip(SKIP_3) | instid1(VALU_DEP_3)
	v_dual_mov_b32 v35, v22 :: v_dual_add_nc_u32 v32, s6, v120
	s_wait_alu 0xfffe
	v_add_nc_u32_e32 v24, s7, v120
	v_lshlrev_b64_e32 v[1:2], 3, v[1:2]
	v_add_nc_u32_e32 v26, s6, v32
	v_ashrrev_i32_e32 v33, 31, v32
	s_delay_alu instid0(VALU_DEP_4) | instskip(NEXT) | instid1(VALU_DEP_4)
	v_ashrrev_i32_e32 v25, 31, v24
	v_add_co_u32 v18, vcc_lo, s14, v1
	s_wait_alu 0xfffd
	v_add_co_ci_u32_e64 v19, null, s15, v2, vcc_lo
	v_add_co_u32 v20, vcc_lo, s16, v1
	s_wait_alu 0xfffd
	v_add_co_ci_u32_e64 v21, null, s17, v2, vcc_lo
	v_add_nc_u32_e32 v2, v175, v88
	v_add_nc_u32_e32 v1, v8, v121
	scratch_store_b32 off, v23, off offset:132 ; 4-byte Folded Spill
	v_add_nc_u32_e32 v0, v23, v121
	v_ashrrev_i32_e32 v27, 31, v26
	v_ashrrev_i32_e32 v3, 31, v2
	v_add_nc_u32_e32 v22, s21, v1
	v_lshlrev_b64_e32 v[74:75], 3, v[24:25]
	s_delay_alu instid0(VALU_DEP_3) | instskip(NEXT) | instid1(VALU_DEP_3)
	v_lshlrev_b64_e32 v[96:97], 3, v[2:3]
	v_ashrrev_i32_e32 v23, 31, v22
	v_add_nc_u32_e32 v30, s6, v22
	s_delay_alu instid0(VALU_DEP_3) | instskip(SKIP_1) | instid1(VALU_DEP_4)
	v_add_co_u32 v2, vcc_lo, s14, v96
	s_wait_alu 0xfffd
	v_add_co_ci_u32_e64 v3, null, s15, v97, vcc_lo
	v_add_co_u32 v5, vcc_lo, s16, v96
	s_wait_alu 0xfffd
	v_add_co_ci_u32_e64 v6, null, s17, v97, vcc_lo
	global_load_b64 v[132:133], v[2:3], off
	global_load_b64 v[48:49], v[5:6], off
	v_add_nc_u32_e32 v2, s21, v174
	scratch_store_b32 off, v35, off offset:184 ; 4-byte Folded Spill
	v_lshlrev_b64_e32 v[116:117], 3, v[22:23]
	v_lshlrev_b64_e32 v[22:23], 3, v[26:27]
	global_load_b64 v[124:125], v[10:11], off
	global_load_b64 v[26:27], v[12:13], off
	v_add_nc_u32_e32 v28, s6, v2
	v_ashrrev_i32_e32 v3, 31, v2
	v_add_nc_u32_e32 v5, s21, v0
	v_ashrrev_i32_e32 v31, 31, v30
	v_add_nc_u32_e32 v39, -1, v94
	v_ashrrev_i32_e32 v29, 31, v28
	v_lshlrev_b64_e32 v[76:77], 3, v[2:3]
	v_add_nc_u32_e32 v2, s6, v5
	v_ashrrev_i32_e32 v6, 31, v5
	v_lshlrev_b64_e32 v[72:73], 3, v[30:31]
	v_lshlrev_b64_e32 v[111:112], 3, v[28:29]
	s_delay_alu instid0(VALU_DEP_4) | instskip(NEXT) | instid1(VALU_DEP_4)
	v_ashrrev_i32_e32 v3, 31, v2
	v_lshlrev_b64_e32 v[70:71], 3, v[5:6]
	s_delay_alu instid0(VALU_DEP_2) | instskip(SKIP_3) | instid1(VALU_DEP_4)
	v_lshlrev_b64_e32 v[78:79], 3, v[2:3]
	v_add_co_u32 v2, vcc_lo, s18, v76
	s_wait_alu 0xfffd
	v_add_co_ci_u32_e64 v3, null, s19, v77, vcc_lo
	v_add_co_u32 v10, vcc_lo, s18, v70
	s_wait_alu 0xfffd
	v_add_co_ci_u32_e64 v11, null, s19, v71, vcc_lo
	;; [unrolled: 3-line block ×4, first 2 shown]
	s_wait_loadcnt 0x0
	scratch_store_b64 off, v[26:27], off offset:384 ; 8-byte Folded Spill
	global_load_b64 v[136:137], v[14:15], off
	global_load_b64 v[24:25], v[16:17], off
	;; [unrolled: 1-line block ×4, first 2 shown]
	v_add_co_u32 v14, vcc_lo, s18, v22
	s_wait_alu 0xfffd
	v_add_co_ci_u32_e64 v15, null, s19, v23, vcc_lo
	global_load_b64 v[118:119], v[2:3], off
	v_add_co_u32 v2, vcc_lo, s18, v111
	v_dual_mov_b32 v19, v15 :: v_dual_mov_b32 v18, v14
	s_wait_alu 0xfffd
	v_add_co_ci_u32_e64 v3, null, s19, v112, vcc_lo
	v_add_co_u32 v14, vcc_lo, s18, v72
	s_wait_alu 0xfffd
	v_add_co_ci_u32_e64 v15, null, s19, v73, vcc_lo
	v_add_co_u32 v16, vcc_lo, s18, v78
	s_wait_alu 0xfffd
	v_add_co_ci_u32_e64 v17, null, s19, v79, vcc_lo
	v_add_nc_u32_e32 v66, s6, v0
	v_add_nc_u32_e32 v113, -2, v94
	v_add_nc_u32_e32 v89, 1, v94
	s_clause 0x1
	scratch_store_b64 off, v[5:6], off offset:280
	scratch_store_b64 off, v[18:19], off offset:272
	v_ashrrev_i32_e32 v67, 31, v66
	s_delay_alu instid0(VALU_DEP_1)
	v_lshlrev_b64_e32 v[142:143], 3, v[66:67]
	s_wait_loadcnt 0x3
	scratch_store_b64 off, v[24:25], off offset:376 ; 8-byte Folded Spill
	s_wait_loadcnt 0x2
	scratch_store_b64 off, v[28:29], off offset:368 ; 8-byte Folded Spill
	;; [unrolled: 2-line block ×3, first 2 shown]
	s_clause 0x6
	global_load_b64 v[158:159], v[10:11], off
	global_load_b64 v[62:63], v[12:13], off
	;; [unrolled: 1-line block ×5, first 2 shown]
	global_load_b128 v[10:13], v[18:19], off
	global_load_b128 v[188:191], v[5:6], off
	v_add_f64_e32 v[2:3], v[132:133], v[48:49]
	v_add_f64_e32 v[5:6], v[124:125], v[26:27]
	scratch_store_b64 off, v[2:3], off offset:40 ; 8-byte Folded Spill
	s_wait_loadcnt 0x1
	scratch_store_b128 off, v[10:13], off   ; 16-byte Folded Spill
	v_mul_f64_e32 v[2:3], v[2:3], v[10:11]
	v_add_f64_e32 v[10:11], v[136:137], v[24:25]
	scratch_store_b64 off, v[5:6], off offset:48 ; 8-byte Folded Spill
	s_wait_loadcnt 0x0
	v_mul_f64_e32 v[46:47], v[2:3], v[188:189]
	v_add_f64_e32 v[2:3], v[28:29], v[20:21]
	scratch_store_b64 off, v[10:11], off offset:56 ; 8-byte Folded Spill
	v_mul_f64_e32 v[10:11], v[10:11], v[62:63]
	v_mul_f64_e32 v[40:41], v[2:3], v[118:119]
	scratch_store_b64 off, v[2:3], off offset:64 ; 8-byte Folded Spill
	v_mul_f64_e32 v[2:3], v[5:6], v[158:159]
	v_add3_u32 v6, v88, v7, s23
	v_ashrrev_i32_e32 v5, 31, v94
	v_fma_f64 v[12:13], v[10:11], v[152:153], v[46:47]
	v_mul_f64_e32 v[82:83], v[10:11], v[152:153]
	v_mul_f64_e32 v[60:61], v[40:41], v[156:157]
	v_fma_f64 v[40:41], v[40:41], v[156:157], v[46:47]
	s_delay_alu instid0(VALU_DEP_2) | instskip(SKIP_1) | instid1(VALU_DEP_2)
	v_fma_f64 v[14:15], v[2:3], v[164:165], v[60:61]
	v_fma_f64 v[2:3], v[2:3], v[164:165], v[46:47]
	;; [unrolled: 1-line block ×3, first 2 shown]
	v_lshlrev_b64_e32 v[14:15], 3, v[32:33]
	v_add_nc_u32_e32 v32, s6, v1
	s_delay_alu instid0(VALU_DEP_4) | instskip(SKIP_1) | instid1(VALU_DEP_3)
	v_fma_f64 v[2:3], 0xbfe80000, v[2:3], v[82:83]
	v_ashrrev_i32_e32 v1, 31, v7
	v_ashrrev_i32_e32 v33, 31, v32
	v_add_co_u32 v16, vcc_lo, s12, v14
	s_wait_alu 0xfffd
	v_add_co_ci_u32_e64 v17, null, s13, v15, vcc_lo
	s_delay_alu instid0(VALU_DEP_3) | instskip(NEXT) | instid1(VALU_DEP_1)
	v_lshlrev_b64_e32 v[162:163], 3, v[32:33]
	v_add_co_u32 v154, vcc_lo, s12, v162
	s_wait_alu 0xfffd
	s_delay_alu instid0(VALU_DEP_2)
	v_add_co_ci_u32_e64 v155, null, s13, v163, vcc_lo
	s_clause 0x1
	global_load_b64 v[90:91], v[16:17], off
	global_load_b128 v[16:19], v[154:155], off
	v_add_co_u32 v146, vcc_lo, s12, v142
	s_wait_alu 0xfffd
	v_add_co_ci_u32_e64 v147, null, s13, v143, vcc_lo
	s_wait_loadcnt 0x0
	scratch_store_b128 off, v[16:19], off offset:312 ; 16-byte Folded Spill
	v_add_f64_e64 v[16:17], v[16:17], -v[90:91]
	s_delay_alu instid0(VALU_DEP_1)
	v_mul_f64_e32 v[12:13], v[12:13], v[16:17]
	global_load_b128 v[16:19], v[146:147], off
	s_wait_loadcnt 0x0
	v_add_f64_e64 v[10:11], v[16:17], -v[90:91]
	scratch_store_b128 off, v[16:19], off offset:344 ; 16-byte Folded Spill
	v_fma_f64 v[170:171], v[2:3], v[10:11], v[12:13]
	v_subrev_nc_u32_e32 v2, s22, v94
	v_add_nc_u32_e32 v10, v6, v39
	v_add_nc_u32_e32 v12, v6, v89
	s_ashr_i32 s22, s5, 31
	s_delay_alu instid0(VALU_DEP_3) | instskip(NEXT) | instid1(VALU_DEP_3)
	v_ashrrev_i32_e32 v3, 31, v2
	v_ashrrev_i32_e32 v11, 31, v10
	s_delay_alu instid0(VALU_DEP_3) | instskip(NEXT) | instid1(VALU_DEP_3)
	v_ashrrev_i32_e32 v13, 31, v12
	v_lshlrev_b64_e32 v[2:3], 3, v[2:3]
	s_delay_alu instid0(VALU_DEP_3) | instskip(NEXT) | instid1(VALU_DEP_3)
	v_lshlrev_b64_e32 v[10:11], 3, v[10:11]
	v_lshlrev_b64_e32 v[12:13], 3, v[12:13]
	s_delay_alu instid0(VALU_DEP_3) | instskip(SKIP_3) | instid1(VALU_DEP_2)
	v_add_co_u32 v80, vcc_lo, s24, v2
	v_add_nc_u32_e32 v2, v6, v113
	s_wait_alu 0xfffd
	v_add_co_ci_u32_e64 v81, null, s25, v3, vcc_lo
	v_ashrrev_i32_e32 v3, 31, v2
	s_delay_alu instid0(VALU_DEP_1) | instskip(NEXT) | instid1(VALU_DEP_1)
	v_lshlrev_b64_e32 v[2:3], 3, v[2:3]
	v_add_co_u32 v2, vcc_lo, s14, v2
	s_wait_alu 0xfffd
	s_delay_alu instid0(VALU_DEP_2)
	v_add_co_ci_u32_e64 v3, null, s15, v3, vcc_lo
	v_add_co_u32 v10, vcc_lo, s14, v10
	s_wait_alu 0xfffd
	v_add_co_ci_u32_e64 v11, null, s15, v11, vcc_lo
	v_add_co_u32 v12, vcc_lo, s14, v12
	s_wait_alu 0xfffd
	v_add_co_ci_u32_e64 v13, null, s15, v13, vcc_lo
	v_add_co_u32 v0, vcc_lo, v94, s5
	s_wait_alu 0xfffc
	v_add_co_ci_u32_e64 v5, null, s22, v5, vcc_lo
	global_load_b64 v[2:3], v[2:3], off
	v_add_co_u32 v0, s2, v0, v7
	s_wait_alu 0xf1ff
	v_add_co_ci_u32_e64 v1, null, v5, v1, s2
	v_ashrrev_i32_e32 v5, 31, v88
	s_delay_alu instid0(VALU_DEP_3)
	v_add_co_u32 v0, vcc_lo, v0, v88
	s_ashr_i32 s2, s6, 31
	s_wait_alu 0xfffd
	v_add_co_ci_u32_e64 v1, null, v1, v5, vcc_lo
	v_add_co_u32 v18, vcc_lo, v0, s6
	v_ashrrev_i32_e32 v0, 31, v120
	s_wait_alu 0xfffc
	s_delay_alu instid0(VALU_DEP_3) | instskip(SKIP_2) | instid1(VALU_DEP_1)
	v_add_co_ci_u32_e64 v19, null, s2, v1, vcc_lo
	s_ashr_i32 s2, s21, 31
	v_lshlrev_b64_e32 v[18:19], 3, v[18:19]
	v_add_co_u32 v18, vcc_lo, s18, v18
	s_wait_alu 0xfffd
	s_delay_alu instid0(VALU_DEP_2)
	v_add_co_ci_u32_e64 v19, null, s19, v19, vcc_lo
	v_add_co_u32 v50, vcc_lo, s18, v14
	s_wait_alu 0xfffd
	v_add_co_ci_u32_e64 v51, null, s19, v15, vcc_lo
	v_add_co_u32 v14, vcc_lo, v120, s21
	s_wait_alu 0xfffc
	v_add_co_ci_u32_e64 v15, null, s2, v0, vcc_lo
	global_load_b64 v[0:1], v[10:11], off
	v_lshlrev_b64_e32 v[14:15], 3, v[14:15]
	s_delay_alu instid0(VALU_DEP_1) | instskip(SKIP_1) | instid1(VALU_DEP_2)
	v_add_co_u32 v14, vcc_lo, s12, v14
	s_wait_alu 0xfffd
	v_add_co_ci_u32_e64 v15, null, s13, v15, vcc_lo
	v_add_co_u32 v52, vcc_lo, s12, v22
	s_wait_alu 0xfffd
	v_add_co_ci_u32_e64 v53, null, s13, v23, vcc_lo
	s_wait_loadcnt 0x1
	scratch_store_b64 off, v[2:3], off offset:240 ; 8-byte Folded Spill
	s_wait_loadcnt 0x0
	scratch_store_b64 off, v[0:1], off offset:188 ; 8-byte Folded Spill
	global_load_b64 v[166:167], v[12:13], off
	s_clause 0x1
	global_load_b128 v[10:13], v[18:19], off offset:-16
	global_load_b128 v[16:19], v[50:51], off
	global_load_b128 v[128:131], v[80:81], off
	global_load_b128 v[42:45], v[52:53], off offset:-8
	s_wait_loadcnt 0x3
	v_mul_f64_e32 v[2:3], v[2:3], v[10:11]
	scratch_store_b128 off, v[10:13], off offset:248 ; 16-byte Folded Spill
	s_wait_loadcnt 0x2
	v_dual_mov_b32 v31, v19 :: v_dual_mov_b32 v30, v18
	v_dual_mov_b32 v29, v17 :: v_dual_mov_b32 v28, v16
	v_mul_f64_e32 v[168:169], v[10:11], v[2:3]
	v_mul_f64_e32 v[2:3], v[0:1], v[12:13]
	;; [unrolled: 1-line block ×3, first 2 shown]
	v_add_nc_u32_e32 v0, -2, v4
	s_delay_alu instid0(VALU_DEP_1) | instskip(NEXT) | instid1(VALU_DEP_1)
	v_mul_lo_u32 v38, v0, s3
	v_add_nc_u32_e32 v100, s3, v38
	v_add_nc_u32_e32 v0, v38, v95
	s_delay_alu instid0(VALU_DEP_2) | instskip(SKIP_2) | instid1(VALU_DEP_1)
	v_lshl_add_u32 v34, s3, 1, v100
	scratch_store_b32 off, v0, off offset:200 ; 4-byte Folded Spill
	v_add_nc_u32_e32 v0, v0, v88
	v_mov_b32_e32 v27, v0
	v_mul_f64_e32 v[148:149], v[12:13], v[2:3]
	v_mul_f64_e32 v[2:3], v[132:133], v[16:17]
	;; [unrolled: 1-line block ×3, first 2 shown]
	s_delay_alu instid0(VALU_DEP_2)
	v_mul_f64_e32 v[2:3], v[16:17], v[2:3]
	global_load_b128 v[16:19], v[80:81], off offset:-16
	s_wait_loadcnt 0x2
	v_mul_f64_e32 v[103:104], v[130:131], v[160:161]
	v_mul_f64_e32 v[10:11], v[128:129], v[2:3]
	s_wait_loadcnt 0x0
	s_delay_alu instid0(VALU_DEP_2) | instskip(NEXT) | instid1(VALU_DEP_2)
	v_fma_f64 v[2:3], v[16:17], v[168:169], v[103:104]
	v_fma_f64 v[12:13], v[18:19], v[148:149], v[10:11]
	v_mul_f64_e32 v[92:93], v[18:19], v[148:149]
	scratch_store_b128 off, v[16:19], off offset:208 ; 16-byte Folded Spill
	v_add3_u32 v18, v88, v100, v9
	s_delay_alu instid0(VALU_DEP_1) | instskip(NEXT) | instid1(VALU_DEP_1)
	v_ashrrev_i32_e32 v19, 31, v18
	v_lshlrev_b64_e32 v[18:19], 3, v[18:19]
	v_fma_f64 v[2:3], 0x40080000, v[12:13], v[2:3]
	v_add_f64_e64 v[12:13], v[42:43], -v[44:45]
	s_delay_alu instid0(VALU_DEP_1) | instskip(SKIP_3) | instid1(VALU_DEP_2)
	v_mul_f64_e32 v[2:3], v[2:3], v[12:13]
	global_load_b64 v[12:13], v[14:15], off offset:-16
	v_fma_f64 v[14:15], v[16:17], v[168:169], v[10:11]
	v_fma_f64 v[16:17], v[132:133], 2.0, v[48:49]
	v_fma_f64 v[14:15], 0xbfe80000, v[14:15], v[92:93]
	s_wait_loadcnt 0x0
	v_add_f64_e64 v[12:13], v[12:13], -v[44:45]
	s_delay_alu instid0(VALU_DEP_1) | instskip(SKIP_2) | instid1(VALU_DEP_2)
	v_fma_f64 v[101:102], v[14:15], v[12:13], v[2:3]
	v_subrev_nc_u32_e32 v2, s4, v4
	v_add3_u32 v12, v88, v38, v9
	v_ashrrev_i32_e32 v3, 31, v2
	s_delay_alu instid0(VALU_DEP_2) | instskip(NEXT) | instid1(VALU_DEP_2)
	v_ashrrev_i32_e32 v13, 31, v12
	v_lshlrev_b64_e32 v[2:3], 3, v[2:3]
	s_delay_alu instid0(VALU_DEP_2) | instskip(NEXT) | instid1(VALU_DEP_2)
	v_lshlrev_b64_e32 v[12:13], 3, v[12:13]
	v_add_co_u32 v7, vcc_lo, s26, v2
	s_wait_alu 0xfffd
	s_delay_alu instid0(VALU_DEP_3) | instskip(NEXT) | instid1(VALU_DEP_3)
	v_add_co_ci_u32_e64 v8, null, s27, v3, vcc_lo
	v_add_co_u32 v14, vcc_lo, s14, v12
	s_wait_alu 0xfffd
	v_add_co_ci_u32_e64 v15, null, s15, v13, vcc_lo
	v_add_co_u32 v12, vcc_lo, s16, v12
	s_wait_alu 0xfffd
	;; [unrolled: 3-line block ×3, first 2 shown]
	v_add_co_ci_u32_e64 v37, null, s15, v19, vcc_lo
	v_add_co_u32 v42, vcc_lo, s16, v18
	v_add3_u32 v18, v88, v34, v9
	s_wait_alu 0xfffd
	v_add_co_ci_u32_e64 v43, null, s17, v19, vcc_lo
	s_delay_alu instid0(VALU_DEP_2) | instskip(NEXT) | instid1(VALU_DEP_1)
	v_ashrrev_i32_e32 v19, 31, v18
	v_lshlrev_b64_e32 v[18:19], 3, v[18:19]
	s_delay_alu instid0(VALU_DEP_1) | instskip(SKIP_1) | instid1(VALU_DEP_2)
	v_add_co_u32 v68, vcc_lo, s14, v18
	s_wait_alu 0xfffd
	v_add_co_ci_u32_e64 v69, null, s15, v19, vcc_lo
	v_add_co_u32 v86, vcc_lo, s16, v18
	v_add_nc_u32_e32 v18, s6, v0
	s_wait_alu 0xfffd
	v_add_co_ci_u32_e64 v87, null, s17, v19, vcc_lo
	v_add_nc_u32_e32 v0, v100, v95
	s_delay_alu instid0(VALU_DEP_3) | instskip(SKIP_3) | instid1(VALU_DEP_2)
	v_ashrrev_i32_e32 v19, 31, v18
	scratch_store_b32 off, v0, off offset:196 ; 4-byte Folded Spill
	v_add_nc_u32_e32 v0, v0, v88
	v_lshlrev_b64_e32 v[18:19], 3, v[18:19]
	v_mov_b32_e32 v26, v0
	s_delay_alu instid0(VALU_DEP_2) | instskip(SKIP_4) | instid1(VALU_DEP_3)
	v_add_co_u32 v98, vcc_lo, s18, v18
	v_add_nc_u32_e32 v18, s6, v0
	v_add_nc_u32_e32 v0, v34, v95
	s_wait_alu 0xfffd
	v_add_co_ci_u32_e64 v99, null, s19, v19, vcc_lo
	v_ashrrev_i32_e32 v19, 31, v18
	scratch_store_b32 off, v0, off offset:204 ; 4-byte Folded Spill
	v_add_nc_u32_e32 v0, v0, v88
	s_clause 0x2
	scratch_store_b64 off, v[22:23], off offset:16
	scratch_store_b32 off, v27, off offset:136
	scratch_store_b32 off, v26, off offset:104
	v_lshlrev_b64_e32 v[18:19], 3, v[18:19]
	v_add_nc_u32_e32 v126, s6, v0
	scratch_store_b32 off, v0, off offset:100 ; 4-byte Folded Spill
	v_ashrrev_i32_e32 v127, 31, v126
	v_add_co_u32 v114, vcc_lo, s18, v18
	s_wait_alu 0xfffd
	v_add_co_ci_u32_e64 v115, null, s19, v19, vcc_lo
	s_delay_alu instid0(VALU_DEP_3) | instskip(NEXT) | instid1(VALU_DEP_1)
	v_lshlrev_b64_e32 v[172:173], 3, v[126:127]
	v_add_co_u32 v172, vcc_lo, s18, v172
	s_wait_alu 0xfffd
	s_delay_alu instid0(VALU_DEP_2)
	v_add_co_ci_u32_e64 v173, null, s19, v173, vcc_lo
	global_load_b64 v[14:15], v[14:15], off
	global_load_b64 v[4:5], v[12:13], off
	;; [unrolled: 1-line block ×6, first 2 shown]
	s_clause 0x2
	global_load_b64 v[150:151], v[98:99], off
	global_load_b64 v[84:85], v[114:115], off
	;; [unrolled: 1-line block ×3, first 2 shown]
	global_load_b128 v[138:141], v[7:8], off
	s_wait_loadcnt 0x8
	v_fma_f64 v[14:15], v[14:15], 2.0, v[4:5]
	v_dual_mov_b32 v99, v5 :: v_dual_mov_b32 v98, v4
	s_wait_loadcnt 0x6
	v_fma_f64 v[4:5], v[12:13], 2.0, v[0:1]
	v_dual_mov_b32 v115, v1 :: v_dual_mov_b32 v114, v0
	s_wait_loadcnt 0x4
	v_fma_f64 v[0:1], v[42:43], 2.0, v[134:135]
	v_add_nc_u32_e32 v127, s20, v35
	s_wait_loadcnt 0x3
	v_mul_f64_e32 v[12:13], v[14:15], v[150:151]
	s_clause 0x3
	scratch_store_b64 off, v[14:15], off offset:92
	scratch_store_b64 off, v[114:115], off offset:140
	;; [unrolled: 1-line block ×4, first 2 shown]
	v_mul_f64_e32 v[42:43], v[150:151], v[12:13]
	s_wait_loadcnt 0x2
	v_mul_f64_e32 v[12:13], v[4:5], v[84:85]
	s_delay_alu instid0(VALU_DEP_1)
	v_mul_f64_e32 v[172:173], v[84:85], v[12:13]
	s_wait_loadcnt 0x1
	v_mul_f64_e32 v[12:13], v[0:1], v[86:87]
	global_load_b128 v[0:3], v[7:8], off offset:-16
	v_mul_f64_e32 v[122:123], v[86:87], v[12:13]
	v_mul_f64_e32 v[12:13], v[28:29], v[16:17]
	;; [unrolled: 1-line block ×3, first 2 shown]
	s_wait_loadcnt 0x1
	s_delay_alu instid0(VALU_DEP_3) | instskip(NEXT) | instid1(VALU_DEP_3)
	v_mul_f64_e32 v[22:23], v[140:141], v[122:123]
	v_mul_f64_e32 v[54:55], v[28:29], v[12:13]
	s_delay_alu instid0(VALU_DEP_3) | instskip(NEXT) | instid1(VALU_DEP_2)
	v_mul_f64_e32 v[16:17], v[138:139], v[16:17]
	v_mul_f64_e32 v[4:5], v[138:139], v[54:55]
	s_delay_alu instid0(VALU_DEP_2) | instskip(SKIP_2) | instid1(VALU_DEP_3)
	v_mul_f64_e32 v[16:17], v[188:189], v[16:17]
	s_wait_loadcnt 0x0
	v_fma_f64 v[18:19], v[0:1], v[42:43], v[22:23]
	v_fma_f64 v[24:25], v[2:3], v[172:173], v[4:5]
	v_dual_mov_b32 v15, v3 :: v_dual_mov_b32 v14, v2
	v_dual_mov_b32 v13, v1 :: v_dual_mov_b32 v12, v0
	v_add_nc_u32_e32 v2, v127, v121
	scratch_store_b128 off, v[12:15], off offset:108 ; 16-byte Folded Spill
	v_fma_f64 v[18:19], 0x40080000, v[24:25], v[18:19]
	v_add_nc_u32_e32 v24, s21, v26
	s_delay_alu instid0(VALU_DEP_1) | instskip(NEXT) | instid1(VALU_DEP_1)
	v_ashrrev_i32_e32 v25, 31, v24
	v_lshlrev_b64_e32 v[0:1], 3, v[24:25]
	scratch_store_b128 off, v[28:31], off offset:224 ; 16-byte Folded Spill
	v_fma_f64 v[29:30], v[12:13], v[42:43], v[4:5]
	v_add_co_u32 v24, vcc_lo, s12, v0
	s_wait_alu 0xfffd
	v_add_co_ci_u32_e64 v25, null, s13, v1, vcc_lo
	scratch_store_b64 off, v[0:1], off offset:148 ; 8-byte Folded Spill
	global_load_b64 v[24:25], v[24:25], off
	s_wait_loadcnt 0x0
	v_add_f64_e64 v[24:25], v[24:25], -v[44:45]
	s_delay_alu instid0(VALU_DEP_1)
	v_mul_f64_e32 v[18:19], v[18:19], v[24:25]
	v_add_nc_u32_e32 v24, s21, v27
	v_mul_f64_e32 v[26:27], v[14:15], v[172:173]
	v_add_nc_u32_e32 v15, 2, v94
	v_add_nc_u32_e32 v14, s3, v34
	s_load_b128 s[0:3], s[0:1], 0x60
	v_ashrrev_i32_e32 v25, 31, v24
	s_delay_alu instid0(VALU_DEP_1) | instskip(NEXT) | instid1(VALU_DEP_1)
	v_lshlrev_b64_e32 v[0:1], 3, v[24:25]
	v_add_co_u32 v24, vcc_lo, s12, v0
	s_wait_alu 0xfffd
	s_delay_alu instid0(VALU_DEP_2) | instskip(SKIP_4) | instid1(VALU_DEP_1)
	v_add_co_ci_u32_e64 v25, null, s13, v1, vcc_lo
	scratch_store_b64 off, v[0:1], off offset:76 ; 8-byte Folded Spill
	v_add_nc_u32_e32 v0, s6, v174
	global_load_b64 v[24:25], v[24:25], off
	v_ashrrev_i32_e32 v1, 31, v0
	v_lshlrev_b64_e32 v[178:179], 3, v[0:1]
	v_add_nc_u32_e32 v0, s7, v0
	v_fma_f64 v[29:30], 0xbfe80000, v[29:30], v[26:27]
	s_wait_loadcnt 0x0
	v_add_f64_e64 v[24:25], v[24:25], -v[44:45]
	s_delay_alu instid0(VALU_DEP_1) | instskip(SKIP_1) | instid1(VALU_DEP_1)
	v_fma_f64 v[24:25], v[29:30], v[24:25], v[18:19]
	v_add_nc_u32_e32 v29, v127, v175
	v_ashrrev_i32_e32 v30, 31, v29
	s_delay_alu instid0(VALU_DEP_1) | instskip(NEXT) | instid1(VALU_DEP_1)
	v_lshlrev_b64_e32 v[29:30], 3, v[29:30]
	v_add_co_u32 v42, vcc_lo, s14, v29
	s_wait_alu 0xfffd
	s_delay_alu instid0(VALU_DEP_2)
	v_add_co_ci_u32_e64 v43, null, s15, v30, vcc_lo
	v_add_co_u32 v29, vcc_lo, s16, v29
	s_wait_alu 0xfffd
	v_add_co_ci_u32_e64 v30, null, s17, v30, vcc_lo
	global_load_b64 v[144:145], v[42:43], off
	global_load_b64 v[182:183], v[29:30], off
	v_add_nc_u32_e32 v29, s21, v2
	s_delay_alu instid0(VALU_DEP_1) | instskip(NEXT) | instid1(VALU_DEP_1)
	v_ashrrev_i32_e32 v30, 31, v29
	v_lshlrev_b64_e32 v[30:31], 3, v[29:30]
	s_delay_alu instid0(VALU_DEP_1) | instskip(SKIP_1) | instid1(VALU_DEP_2)
	v_add_co_u32 v42, vcc_lo, s18, v30
	s_wait_alu 0xfffd
	v_add_co_ci_u32_e64 v43, null, s19, v31, vcc_lo
	global_load_b64 v[180:181], v[42:43], off
	v_add_nc_u32_e32 v42, s6, v29
	s_delay_alu instid0(VALU_DEP_1) | instskip(NEXT) | instid1(VALU_DEP_1)
	v_ashrrev_i32_e32 v43, 31, v42
	v_lshlrev_b64_e32 v[64:65], 3, v[42:43]
	s_delay_alu instid0(VALU_DEP_1) | instskip(SKIP_1) | instid1(VALU_DEP_2)
	v_add_co_u32 v42, vcc_lo, s18, v64
	s_wait_alu 0xfffd
	v_add_co_ci_u32_e64 v43, null, s19, v65, vcc_lo
	v_add_co_u32 v176, vcc_lo, s12, v178
	s_wait_alu 0xfffd
	v_add_co_ci_u32_e64 v177, null, s13, v179, vcc_lo
	global_load_b64 v[184:185], v[42:43], off
	global_load_b128 v[107:110], v[176:177], off
	s_wait_loadcnt 0x3
	v_add_f64_e32 v[36:37], v[144:145], v[182:183]
	s_wait_loadcnt 0x2
	s_delay_alu instid0(VALU_DEP_1)
	v_mul_f64_e32 v[105:106], v[36:37], v[180:181]
	s_wait_loadcnt 0x1
	v_mul_f64_e32 v[36:37], v[36:37], v[184:185]
	s_wait_loadcnt 0x0
	v_add_f64_e64 v[12:13], v[107:108], -v[90:91]
	v_add_nc_u32_e32 v108, v14, v95
	s_delay_alu instid0(VALU_DEP_1) | instskip(SKIP_1) | instid1(VALU_DEP_1)
	v_add_nc_u32_e32 v1, v108, v88
	v_fma_f64 v[42:43], v[105:106], v[184:185], v[82:83]
	v_fma_f64 v[82:83], 0x40080000, v[40:41], v[42:43]
	v_add_nc_u32_e32 v40, v6, v15
	s_delay_alu instid0(VALU_DEP_1) | instskip(NEXT) | instid1(VALU_DEP_1)
	v_ashrrev_i32_e32 v41, 31, v40
	v_lshlrev_b64_e32 v[40:41], 3, v[40:41]
	s_delay_alu instid0(VALU_DEP_1) | instskip(SKIP_1) | instid1(VALU_DEP_2)
	v_add_co_u32 v40, vcc_lo, s14, v40
	s_wait_alu 0xfffd
	v_add_co_ci_u32_e64 v41, null, s15, v41, vcc_lo
	v_fma_f64 v[12:13], v[82:83], v[12:13], v[170:171]
	global_load_b64 v[174:175], v[40:41], off
	global_load_b64 v[172:173], v[50:51], off offset:16
	global_load_b64 v[170:171], v[80:81], off offset:16
	v_fma_f64 v[50:51], v[130:131], v[160:161], v[10:11]
	scratch_store_b32 off, v1, off offset:164 ; 4-byte Folded Spill
	s_wait_loadcnt 0x1
	v_mul_f64_e32 v[40:41], v[174:175], v[172:173]
	s_delay_alu instid0(VALU_DEP_1) | instskip(SKIP_1) | instid1(VALU_DEP_1)
	v_mul_f64_e32 v[186:187], v[172:173], v[40:41]
	s_wait_loadcnt 0x0
	v_fma_f64 v[40:41], v[170:171], v[186:187], v[92:93]
	v_fma_f64 v[10:11], v[170:171], v[186:187], v[10:11]
	s_delay_alu instid0(VALU_DEP_2) | instskip(SKIP_4) | instid1(VALU_DEP_1)
	v_fma_f64 v[40:41], 0x40080000, v[50:51], v[40:41]
	global_load_b128 v[50:53], v[52:53], off offset:8
	v_fma_f64 v[10:11], 0xbfe80000, v[10:11], v[103:104]
	s_wait_loadcnt 0x0
	v_add_f64_e64 v[50:51], v[50:51], -v[44:45]
	v_fma_f64 v[50:51], v[40:41], v[50:51], v[101:102]
	v_add3_u32 v40, v88, v14, v9
	v_add_nc_u32_e32 v101, s6, v1
	v_ashrrev_i32_e32 v1, 31, v0
	s_delay_alu instid0(VALU_DEP_3) | instskip(NEXT) | instid1(VALU_DEP_3)
	v_ashrrev_i32_e32 v41, 31, v40
	v_ashrrev_i32_e32 v102, 31, v101
	s_delay_alu instid0(VALU_DEP_3) | instskip(NEXT) | instid1(VALU_DEP_3)
	v_lshlrev_b64_e32 v[0:1], 3, v[0:1]
	v_lshlrev_b64_e32 v[40:41], 3, v[40:41]
	s_delay_alu instid0(VALU_DEP_3) | instskip(NEXT) | instid1(VALU_DEP_2)
	v_lshlrev_b64_e32 v[82:83], 3, v[101:102]
	v_add_co_u32 v80, vcc_lo, s14, v40
	s_wait_alu 0xfffd
	s_delay_alu instid0(VALU_DEP_3)
	v_add_co_ci_u32_e64 v81, null, s15, v41, vcc_lo
	v_add_co_u32 v40, vcc_lo, s16, v40
	s_wait_alu 0xfffd
	v_add_co_ci_u32_e64 v41, null, s17, v41, vcc_lo
	v_add_co_u32 v92, vcc_lo, s18, v82
	s_wait_alu 0xfffd
	v_add_co_ci_u32_e64 v93, null, s19, v83, vcc_lo
	global_load_b64 v[94:95], v[80:81], off
	global_load_b64 v[56:57], v[40:41], off
	;; [unrolled: 1-line block ×3, first 2 shown]
	global_load_b64 v[18:19], v[7:8], off offset:16
	s_wait_loadcnt 0x2
	v_fma_f64 v[6:7], v[94:95], 2.0, v[56:57]
	scratch_store_b64 off, v[6:7], off offset:156 ; 8-byte Folded Spill
	s_wait_loadcnt 0x1
	v_mul_f64_e32 v[6:7], v[6:7], v[48:49]
	s_delay_alu instid0(VALU_DEP_1) | instskip(SKIP_1) | instid1(VALU_DEP_1)
	v_mul_f64_e32 v[6:7], v[48:49], v[6:7]
	s_wait_loadcnt 0x0
	v_fma_f64 v[8:9], v[18:19], v[6:7], v[26:27]
	v_fma_f64 v[26:27], v[140:141], v[122:123], v[4:5]
	v_dual_mov_b32 v123, v63 :: v_dual_mov_b32 v122, v62
	v_fma_f64 v[4:5], v[18:19], v[6:7], v[4:5]
	s_delay_alu instid0(VALU_DEP_3) | instskip(SKIP_1) | instid1(VALU_DEP_3)
	v_fma_f64 v[8:9], 0x40080000, v[26:27], v[8:9]
	v_add_nc_u32_e32 v26, s6, v126
	v_fma_f64 v[4:5], 0xbfe80000, v[4:5], v[22:23]
	s_delay_alu instid0(VALU_DEP_2) | instskip(NEXT) | instid1(VALU_DEP_1)
	v_ashrrev_i32_e32 v27, 31, v26
	v_lshlrev_b64_e32 v[20:21], 3, v[26:27]
	s_clause 0x1
	scratch_store_b64 off, v[18:19], off offset:168
	scratch_store_b64 off, v[20:21], off offset:304
	v_add_co_u32 v26, vcc_lo, s12, v20
	s_wait_alu 0xfffd
	v_add_co_ci_u32_e64 v27, null, s13, v21, vcc_lo
	global_load_b64 v[26:27], v[26:27], off
	s_wait_loadcnt 0x0
	v_add_f64_e64 v[26:27], v[26:27], -v[44:45]
	s_delay_alu instid0(VALU_DEP_1) | instskip(SKIP_2) | instid1(VALU_DEP_1)
	v_fma_f64 v[26:27], v[8:9], v[26:27], v[24:25]
	v_fma_f64 v[8:9], v[105:106], v[184:185], v[46:47]
	v_add_nc_u32_e32 v105, s6, v2
	v_ashrrev_i32_e32 v106, 31, v105
	s_delay_alu instid0(VALU_DEP_1) | instskip(SKIP_2) | instid1(VALU_DEP_3)
	v_lshlrev_b64_e32 v[54:55], 3, v[105:106]
	v_dual_mov_b32 v106, v118 :: v_dual_mov_b32 v107, v119
	v_dual_mov_b32 v118, v136 :: v_dual_mov_b32 v119, v137
	v_add_co_u32 v42, vcc_lo, s12, v54
	s_wait_alu 0xfffd
	s_delay_alu instid0(VALU_DEP_4)
	v_add_co_ci_u32_e64 v43, null, s13, v55, vcc_lo
	global_load_b128 v[80:83], v[42:43], off
	v_fma_f64 v[8:9], 0xbfe80000, v[8:9], v[60:61]
	s_wait_loadcnt 0x0
	v_add_f64_e64 v[24:25], v[80:81], -v[90:91]
	v_dual_mov_b32 v90, v124 :: v_dual_mov_b32 v91, v125
	s_delay_alu instid0(VALU_DEP_2) | instskip(SKIP_2) | instid1(VALU_DEP_1)
	v_fma_f64 v[58:59], v[8:9], v[24:25], v[12:13]
	v_add_f64_e64 v[8:9], v[52:53], -v[44:45]
	v_add_nc_u32_e32 v24, s7, v32
	v_ashrrev_i32_e32 v25, 31, v24
	s_delay_alu instid0(VALU_DEP_1) | instskip(NEXT) | instid1(VALU_DEP_4)
	v_lshlrev_b64_e32 v[24:25], 3, v[24:25]
	v_fma_f64 v[28:29], v[10:11], v[8:9], v[50:51]
	v_lshl_add_u32 v8, s6, 2, v120
	v_add_nc_u32_e32 v10, s7, v66
	s_delay_alu instid0(VALU_DEP_2) | instskip(NEXT) | instid1(VALU_DEP_2)
	v_ashrrev_i32_e32 v9, 31, v8
	v_ashrrev_i32_e32 v11, 31, v10
	s_delay_alu instid0(VALU_DEP_2) | instskip(NEXT) | instid1(VALU_DEP_2)
	v_lshlrev_b64_e32 v[8:9], 3, v[8:9]
	v_lshlrev_b64_e32 v[10:11], 3, v[10:11]
	s_delay_alu instid0(VALU_DEP_2) | instskip(SKIP_1) | instid1(VALU_DEP_3)
	v_add_co_u32 v8, vcc_lo, s18, v8
	s_wait_alu 0xfffd
	v_add_co_ci_u32_e64 v9, null, s19, v9, vcc_lo
	s_delay_alu instid0(VALU_DEP_3)
	v_add_co_u32 v10, vcc_lo, s18, v10
	s_wait_alu 0xfffd
	v_add_co_ci_u32_e64 v11, null, s19, v11, vcc_lo
	v_add_co_u32 v24, vcc_lo, s18, v24
	s_wait_alu 0xfffd
	v_add_co_ci_u32_e64 v25, null, s19, v25, vcc_lo
	global_load_b64 v[20:21], v[10:11], off
	v_add_co_u32 v0, vcc_lo, s18, v0
	s_clause 0x1
	global_load_b64 v[40:41], v[24:25], off
	global_load_b64 v[120:121], v[8:9], off
	scratch_load_b128 v[50:53], off, off    ; 16-byte Folded Reload
	s_wait_alu 0xfffd
	v_add_co_ci_u32_e64 v1, null, s19, v1, vcc_lo
	s_clause 0x1
	scratch_load_b64 v[80:81], off, off offset:384 th:TH_LOAD_LU
	scratch_load_b64 v[94:95], off, off offset:376 th:TH_LOAD_LU
	v_mul_f64_e32 v[10:11], v[128:129], v[158:159]
	global_load_b64 v[12:13], v[0:1], off
	v_mul_f64_e32 v[24:25], v[128:129], v[122:123]
	v_mul_f64_e32 v[0:1], v[128:129], v[106:107]
	;; [unrolled: 1-line block ×3, first 2 shown]
	s_delay_alu instid0(VALU_DEP_3) | instskip(NEXT) | instid1(VALU_DEP_3)
	v_mul_f64_e32 v[24:25], v[122:123], v[24:25]
	v_mul_f64_e32 v[0:1], v[106:107], v[0:1]
	s_wait_loadcnt 0x6
	v_mul_f64_e32 v[46:47], v[20:21], v[20:21]
	s_wait_loadcnt 0x3
	v_mul_f64_e32 v[8:9], v[128:129], v[50:51]
	s_delay_alu instid0(VALU_DEP_2) | instskip(SKIP_1) | instid1(VALU_DEP_3)
	v_fma_f64 v[10:11], v[128:129], v[10:11], v[46:47]
	v_mul_f64_e32 v[46:47], v[40:41], v[40:41]
	v_mul_f64_e32 v[8:9], v[50:51], v[8:9]
	s_delay_alu instid0(VALU_DEP_3) | instskip(NEXT) | instid1(VALU_DEP_3)
	v_mul_f64_e32 v[10:11], v[90:91], v[10:11]
	v_fma_f64 v[24:25], v[128:129], v[24:25], v[46:47]
	v_mul_f64_e32 v[46:47], v[120:121], v[120:121]
	s_delay_alu instid0(VALU_DEP_2) | instskip(NEXT) | instid1(VALU_DEP_2)
	v_mul_f64_e32 v[24:25], v[118:119], v[24:25]
	v_fma_f64 v[8:9], v[128:129], v[8:9], v[46:47]
	s_wait_loadcnt 0x0
	v_mul_f64_e32 v[46:47], v[12:13], v[12:13]
	s_delay_alu instid0(VALU_DEP_2) | instskip(NEXT) | instid1(VALU_DEP_2)
	v_mul_f64_e32 v[8:9], v[132:133], v[8:9]
	v_fma_f64 v[46:47], v[128:129], v[0:1], v[46:47]
	v_fma_f64 v[0:1], v[90:91], 2.0, v[80:81]
	s_delay_alu instid0(VALU_DEP_3) | instskip(NEXT) | instid1(VALU_DEP_2)
	v_fma_f64 v[16:17], v[138:139], v[16:17], v[8:9]
	v_mul_f64_e32 v[0:1], v[0:1], v[164:165]
	scratch_store_b64 off, v[0:1], off offset:336 ; 8-byte Folded Spill
	v_mul_f64_e32 v[0:1], v[138:139], v[0:1]
	s_delay_alu instid0(VALU_DEP_1) | instskip(NEXT) | instid1(VALU_DEP_1)
	v_mul_f64_e32 v[0:1], v[164:165], v[0:1]
	v_fma_f64 v[10:11], v[138:139], v[0:1], v[10:11]
	v_fma_f64 v[0:1], v[118:119], 2.0, v[94:95]
	s_delay_alu instid0(VALU_DEP_1)
	v_mul_f64_e32 v[0:1], v[0:1], v[152:153]
	scratch_store_b64 off, v[0:1], off offset:176 ; 8-byte Folded Spill
	s_clause 0x1
	scratch_load_b64 v[124:125], off, off offset:368 th:TH_LOAD_LU
	scratch_load_b64 v[92:93], off, off offset:360 th:TH_LOAD_LU
	v_mul_f64_e32 v[50:51], v[138:139], v[0:1]
	scratch_load_b64 v[18:19], off, off offset:40 th:TH_LOAD_LU ; 8-byte Folded Reload
	s_clause 0x2
	scratch_store_b64 off, v[40:41], off offset:264
	scratch_store_b64 off, v[20:21], off offset:296
	;; [unrolled: 1-line block ×3, first 2 shown]
	v_mul_f64_e32 v[50:51], v[152:153], v[50:51]
	s_delay_alu instid0(VALU_DEP_1)
	v_fma_f64 v[102:103], v[138:139], v[50:51], v[24:25]
	s_wait_loadcnt 0x2
	v_mul_f64_e32 v[46:47], v[124:125], v[46:47]
	s_wait_loadcnt 0x1
	v_fma_f64 v[24:25], v[124:125], 2.0, v[92:93]
	s_wait_loadcnt 0x0
	v_mul_f64_e32 v[60:61], v[18:19], v[188:189]
	scratch_load_b64 v[18:19], off, off offset:64 th:TH_LOAD_LU ; 8-byte Folded Reload
	v_dual_mov_b32 v189, v57 :: v_dual_mov_b32 v188, v56
	v_mul_f64_e32 v[0:1], v[24:25], v[156:157]
	v_mul_f64_e32 v[60:61], v[60:61], v[120:121]
	s_delay_alu instid0(VALU_DEP_2) | instskip(SKIP_2) | instid1(VALU_DEP_1)
	v_mul_f64_e32 v[24:25], v[138:139], v[0:1]
	scratch_store_b64 off, v[0:1], off offset:328 ; 8-byte Folded Spill
	v_mul_f64_e32 v[24:25], v[156:157], v[24:25]
	v_fma_f64 v[2:3], v[138:139], v[24:25], v[46:47]
	v_add_co_u32 v24, vcc_lo, s12, v70
	s_wait_alu 0xfffd
	v_add_co_ci_u32_e64 v25, null, s13, v71, vcc_lo
	v_add_co_u32 v62, vcc_lo, s12, v116
	s_wait_alu 0xfffd
	v_add_co_ci_u32_e64 v63, null, s13, v117, vcc_lo
	global_load_b128 v[66:69], v[24:25], off
	v_add_f64_e32 v[46:47], v[102:103], v[16:17]
	global_load_b128 v[50:53], v[62:63], off
	v_add_f64_e32 v[8:9], v[10:11], v[2:3]
	s_delay_alu instid0(VALU_DEP_1) | instskip(SKIP_2) | instid1(VALU_DEP_1)
	v_fma_f64 v[8:9], 0x40080000, v[46:47], v[8:9]
	s_wait_loadcnt 0x0
	v_add_f64_e64 v[46:47], v[50:51], -v[44:45]
	v_mul_f64_e32 v[46:47], v[46:47], v[8:9]
	v_add_f64_e32 v[8:9], v[10:11], v[16:17]
	s_delay_alu instid0(VALU_DEP_1) | instskip(SKIP_1) | instid1(VALU_DEP_1)
	v_fma_f64 v[50:51], 0xbfe80000, v[8:9], v[102:103]
	v_add_f64_e64 v[8:9], v[66:67], -v[44:45]
	v_fma_f64 v[8:9], v[8:9], v[50:51], v[46:47]
	s_wait_kmcnt 0x0
	v_add_co_u32 v46, vcc_lo, s0, v96
	s_wait_alu 0xfffd
	v_add_co_ci_u32_e64 v47, null, s1, v97, vcc_lo
	v_mul_f64_e32 v[50:51], v[128:129], v[138:139]
	s_mov_b32 s1, 0x3fc55555
	s_mov_b32 s0, 0x55555555
	global_load_b64 v[0:1], v[46:47], off
	v_mov_b32_e32 v46, v84
	v_add_nc_u32_e32 v6, s6, v101
	s_wait_alu 0xfffe
	s_mov_b32 s4, s0
	v_mov_b32_e32 v47, v85
	s_delay_alu instid0(VALU_DEP_2) | instskip(SKIP_4) | instid1(TRANS32_DEP_1)
	v_ashrrev_i32_e32 v7, 31, v6
	s_wait_loadcnt 0x0
	v_div_scale_f64 v[96:97], null, v[0:1], v[0:1], v[50:51]
	scratch_store_b64 off, v[0:1], off offset:24 ; 8-byte Folded Spill
	v_rcp_f64_e32 v[116:117], v[96:97]
	v_fma_f64 v[132:133], -v[96:97], v[116:117], 1.0
	s_delay_alu instid0(VALU_DEP_1) | instskip(NEXT) | instid1(VALU_DEP_1)
	v_fma_f64 v[116:117], v[116:117], v[132:133], v[116:117]
	v_fma_f64 v[132:133], -v[96:97], v[116:117], 1.0
	s_delay_alu instid0(VALU_DEP_1) | instskip(SKIP_1) | instid1(VALU_DEP_1)
	v_fma_f64 v[116:117], v[116:117], v[132:133], v[116:117]
	v_div_scale_f64 v[132:133], vcc_lo, v[50:51], v[0:1], v[50:51]
	v_mul_f64_e32 v[0:1], v[132:133], v[116:117]
	s_delay_alu instid0(VALU_DEP_1) | instskip(SKIP_1) | instid1(VALU_DEP_1)
	v_fma_f64 v[96:97], -v[96:97], v[0:1], v[132:133]
	s_wait_alu 0xfffd
	v_div_fmas_f64 v[0:1], v[96:97], v[116:117], v[0:1]
	scratch_store_b64 off, v[0:1], off offset:32 ; 8-byte Folded Spill
	v_div_scale_f64 v[0:1], null, v[138:139], v[138:139], 1.0
	s_delay_alu instid0(VALU_DEP_1) | instskip(NEXT) | instid1(TRANS32_DEP_1)
	v_rcp_f64_e32 v[96:97], v[0:1]
	v_fma_f64 v[116:117], -v[0:1], v[96:97], 1.0
	s_delay_alu instid0(VALU_DEP_1) | instskip(NEXT) | instid1(VALU_DEP_1)
	v_fma_f64 v[96:97], v[96:97], v[116:117], v[96:97]
	v_fma_f64 v[116:117], -v[0:1], v[96:97], 1.0
	s_delay_alu instid0(VALU_DEP_1) | instskip(SKIP_1) | instid1(VALU_DEP_1)
	v_fma_f64 v[96:97], v[96:97], v[116:117], v[96:97]
	v_div_scale_f64 v[116:117], vcc_lo, 1.0, v[138:139], 1.0
	v_mul_f64_e32 v[132:133], v[116:117], v[96:97]
	s_delay_alu instid0(VALU_DEP_1) | instskip(SKIP_1) | instid1(VALU_DEP_1)
	v_fma_f64 v[0:1], -v[0:1], v[132:133], v[116:117]
	s_wait_alu 0xfffd
	v_div_fmas_f64 v[10:11], v[0:1], v[96:97], v[132:133]
	v_div_scale_f64 v[96:97], null, v[128:129], v[128:129], 1.0
	s_delay_alu instid0(VALU_DEP_1) | instskip(NEXT) | instid1(TRANS32_DEP_1)
	v_rcp_f64_e32 v[116:117], v[96:97]
	v_fma_f64 v[132:133], -v[96:97], v[116:117], 1.0
	s_delay_alu instid0(VALU_DEP_1) | instskip(NEXT) | instid1(VALU_DEP_1)
	v_fma_f64 v[116:117], v[116:117], v[132:133], v[116:117]
	v_fma_f64 v[132:133], -v[96:97], v[116:117], 1.0
	s_delay_alu instid0(VALU_DEP_1) | instskip(SKIP_1) | instid1(VALU_DEP_1)
	v_fma_f64 v[116:117], v[116:117], v[132:133], v[116:117]
	v_div_scale_f64 v[132:133], vcc_lo, 1.0, v[128:129], 1.0
	v_mul_f64_e32 v[0:1], v[132:133], v[116:117]
	s_delay_alu instid0(VALU_DEP_1) | instskip(SKIP_1) | instid1(VALU_DEP_1)
	v_fma_f64 v[32:33], -v[96:97], v[0:1], v[132:133]
	s_wait_alu 0xfffd
	v_div_fmas_f64 v[0:1], v[32:33], v[116:117], v[0:1]
	v_lshlrev_b64_e32 v[116:117], 3, v[6:7]
	v_add_f64_e32 v[32:33], v[16:17], v[2:3]
	s_delay_alu instid0(VALU_DEP_2) | instskip(SKIP_1) | instid1(VALU_DEP_3)
	v_add_co_u32 v6, vcc_lo, s12, v116
	s_wait_alu 0xfffd
	v_add_co_ci_u32_e64 v7, null, s13, v117, vcc_lo
	global_load_b64 v[6:7], v[6:7], off
	s_wait_loadcnt 0x0
	v_add_f64_e64 v[6:7], v[6:7], -v[44:45]
	s_delay_alu instid0(VALU_DEP_1) | instskip(SKIP_1) | instid1(VALU_DEP_1)
	v_fma_f64 v[4:5], v[4:5], v[6:7], v[26:27]
	v_add_nc_u32_e32 v6, s7, v105
	v_ashrrev_i32_e32 v7, 31, v6
	s_delay_alu instid0(VALU_DEP_1) | instskip(NEXT) | instid1(VALU_DEP_1)
	v_lshlrev_b64_e32 v[6:7], 3, v[6:7]
	v_add_co_u32 v6, vcc_lo, s18, v6
	s_wait_alu 0xfffd
	s_delay_alu instid0(VALU_DEP_2)
	v_add_co_ci_u32_e64 v7, null, s19, v7, vcc_lo
	v_add_co_u32 v26, vcc_lo, s12, v76
	s_wait_alu 0xfffd
	v_add_co_ci_u32_e64 v27, null, s13, v77, vcc_lo
	global_load_b64 v[96:97], v[6:7], off
	v_mul_f64_e32 v[6:7], v[128:129], v[180:181]
	s_delay_alu instid0(VALU_DEP_1) | instskip(SKIP_2) | instid1(VALU_DEP_1)
	v_mul_f64_e32 v[6:7], v[180:181], v[6:7]
	s_wait_loadcnt 0x0
	v_mul_f64_e32 v[22:23], v[96:97], v[96:97]
	v_fma_f64 v[6:7], v[128:129], v[6:7], v[22:23]
	v_fma_f64 v[22:23], v[144:145], 2.0, v[182:183]
	s_delay_alu instid0(VALU_DEP_2) | instskip(NEXT) | instid1(VALU_DEP_2)
	v_mul_f64_e32 v[6:7], v[144:145], v[6:7]
	v_mul_f64_e32 v[132:133], v[22:23], v[184:185]
	s_delay_alu instid0(VALU_DEP_1) | instskip(NEXT) | instid1(VALU_DEP_1)
	v_mul_f64_e32 v[22:23], v[138:139], v[132:133]
	v_mul_f64_e32 v[22:23], v[184:185], v[22:23]
	s_delay_alu instid0(VALU_DEP_1) | instskip(NEXT) | instid1(VALU_DEP_1)
	v_fma_f64 v[6:7], v[138:139], v[22:23], v[6:7]
	v_add_f64_e32 v[22:23], v[102:103], v[6:7]
	global_load_b128 v[102:105], v[26:27], off
	v_add_f64_e32 v[6:7], v[16:17], v[6:7]
	v_fma_f64 v[22:23], 0x40080000, v[32:33], v[22:23]
	s_delay_alu instid0(VALU_DEP_2) | instskip(SKIP_2) | instid1(VALU_DEP_1)
	v_fma_f64 v[2:3], 0xbfe80000, v[6:7], v[2:3]
	s_wait_loadcnt 0x0
	v_add_f64_e64 v[32:33], v[102:103], -v[44:45]
	v_fma_f64 v[8:9], v[32:33], v[22:23], v[8:9]
	v_add_co_u32 v22, vcc_lo, s12, v74
	s_wait_alu 0xfffd
	v_add_co_ci_u32_e64 v23, null, s13, v75, vcc_lo
	v_mul_f64_e32 v[74:75], v[18:19], v[156:157]
	scratch_load_b64 v[18:19], off, off offset:48 th:TH_LOAD_LU ; 8-byte Folded Reload
	v_add_co_u32 v32, vcc_lo, s12, v78
	s_wait_alu 0xfffd
	v_add_co_ci_u32_e64 v33, null, s13, v79, vcc_lo
	v_add_co_u32 v72, vcc_lo, s12, v72
	s_wait_alu 0xfffd
	v_add_co_ci_u32_e64 v73, null, s13, v73, vcc_lo
	;; [unrolled: 3-line block ×5, first 2 shown]
	v_div_fixup_f64 v[64:65], v[0:1], v[128:129], 1.0
	v_mul_f64_e32 v[0:1], s[0:1], v[4:5]
	v_dual_mov_b32 v111, v150 :: v_dual_mov_b32 v112, v151
	v_mul_f64_e32 v[101:102], v[74:75], v[12:13]
	v_fma_f64 v[74:75], v[74:75], v[12:13], v[60:61]
	s_wait_loadcnt 0x0
	v_mul_f64_e32 v[76:77], v[18:19], v[164:165]
	scratch_load_b64 v[18:19], off, off offset:56 th:TH_LOAD_LU ; 8-byte Folded Reload
	s_clause 0x4
	global_load_b64 v[22:23], v[22:23], off
	global_load_b64 v[72:73], v[72:73], off
	;; [unrolled: 1-line block ×5, first 2 shown]
	v_fma_f64 v[136:137], v[76:77], v[20:21], v[101:102]
	v_fma_f64 v[76:77], v[76:77], v[20:21], v[60:61]
	s_wait_loadcnt 0x5
	v_mul_f64_e32 v[78:79], v[18:19], v[152:153]
	s_wait_loadcnt 0x3
	v_add_f64_e64 v[72:73], v[72:73], -v[22:23]
	s_wait_loadcnt 0x2
	v_add_f64_e64 v[32:33], v[32:33], -v[22:23]
	;; [unrolled: 2-line block ×4, first 2 shown]
	v_fma_f64 v[120:121], v[78:79], v[40:41], v[60:61]
	v_mul_f64_e32 v[78:79], v[78:79], v[40:41]
	s_delay_alu instid0(VALU_DEP_2) | instskip(NEXT) | instid1(VALU_DEP_2)
	v_fma_f64 v[120:121], 0x40080000, v[120:121], v[136:137]
	v_fma_f64 v[76:77], 0xbfe80000, v[76:77], v[78:79]
	s_delay_alu instid0(VALU_DEP_2) | instskip(SKIP_1) | instid1(VALU_DEP_2)
	v_mul_f64_e32 v[72:73], v[120:121], v[72:73]
	v_div_fixup_f64 v[120:121], v[10:11], v[138:139], 1.0
	v_fma_f64 v[32:33], v[76:77], v[32:33], v[72:73]
	v_fma_f64 v[72:73], v[36:37], v[96:97], v[78:79]
	s_delay_alu instid0(VALU_DEP_1)
	v_fma_f64 v[72:73], 0x40080000, v[74:75], v[72:73]
	global_load_b128 v[74:77], v[30:31], off
	v_fma_f64 v[32:33], v[72:73], v[70:71], v[32:33]
	v_dual_mov_b32 v70, v98 :: v_dual_mov_b32 v71, v99
	s_wait_loadcnt 0x0
	v_add_f64_e64 v[16:17], v[74:75], -v[44:45]
	v_dual_mov_b32 v44, v48 :: v_dual_mov_b32 v45, v49
	s_delay_alu instid0(VALU_DEP_2) | instskip(SKIP_1) | instid1(VALU_DEP_2)
	v_fma_f64 v[2:3], v[16:17], v[2:3], v[8:9]
	v_fma_f64 v[8:9], v[36:37], v[96:97], v[60:61]
	v_mul_f64_e32 v[2:3], s[0:1], v[2:3]
	s_delay_alu instid0(VALU_DEP_2) | instskip(NEXT) | instid1(VALU_DEP_1)
	v_fma_f64 v[8:9], 0xbfe80000, v[8:9], v[101:102]
	v_fma_f64 v[6:7], v[8:9], v[6:7], v[32:33]
	v_mul_f64_e32 v[8:9], s[0:1], v[28:29]
	s_delay_alu instid0(VALU_DEP_2) | instskip(NEXT) | instid1(VALU_DEP_2)
	v_mul_f64_e32 v[6:7], s[0:1], v[6:7]
	v_fma_f64 v[4:5], v[120:121], v[8:9], 0
	v_add_nc_u32_e32 v8, s6, v88
	s_delay_alu instid0(VALU_DEP_1)
	v_add3_u32 v15, v15, s5, v8
	v_add3_u32 v23, v113, s5, v8
	;; [unrolled: 1-line block ×4, first 2 shown]
	s_mov_b32 s5, 0x3fe55555
	v_add_nc_u32_e32 v10, v15, v38
	v_add_nc_u32_e32 v12, v23, v38
	;; [unrolled: 1-line block ×5, first 2 shown]
	v_ashrrev_i32_e32 v11, 31, v10
	v_ashrrev_i32_e32 v13, 31, v12
	;; [unrolled: 1-line block ×5, first 2 shown]
	v_lshlrev_b64_e32 v[10:11], 3, v[10:11]
	v_lshlrev_b64_e32 v[12:13], 3, v[12:13]
	;; [unrolled: 1-line block ×5, first 2 shown]
	v_add_nc_u32_e32 v36, v41, v34
	v_add_nc_u32_e32 v60, v15, v100
	;; [unrolled: 1-line block ×5, first 2 shown]
	v_ashrrev_i32_e32 v37, 31, v36
	v_ashrrev_i32_e32 v61, 31, v60
	;; [unrolled: 1-line block ×5, first 2 shown]
	v_lshlrev_b64_e32 v[36:37], 3, v[36:37]
	v_lshlrev_b64_e32 v[60:61], 3, v[60:61]
	v_fma_f64 v[0:1], v[64:65], v[0:1], v[4:5]
	v_mul_f64_e32 v[4:5], v[64:65], v[120:121]
	v_lshlrev_b64_e32 v[72:73], 3, v[72:73]
	v_lshlrev_b64_e32 v[74:75], 3, v[74:75]
	;; [unrolled: 1-line block ×3, first 2 shown]
	v_fma_f64 v[0:1], v[58:59], s[0:1], v[0:1]
	s_mov_b32 s1, 0x3fb55555
	s_delay_alu instid0(VALU_DEP_1) | instskip(SKIP_2) | instid1(VALU_DEP_2)
	v_fma_f64 v[0:1], v[4:5], v[2:3], v[0:1]
	v_add_nc_u32_e32 v2, v23, v14
	v_add_nc_u32_e32 v4, v40, v14
	v_ashrrev_i32_e32 v3, 31, v2
	s_delay_alu instid0(VALU_DEP_2) | instskip(NEXT) | instid1(VALU_DEP_2)
	v_ashrrev_i32_e32 v5, 31, v4
	v_lshlrev_b64_e32 v[2:3], 3, v[2:3]
	s_delay_alu instid0(VALU_DEP_2) | instskip(SKIP_2) | instid1(VALU_DEP_1)
	v_lshlrev_b64_e32 v[4:5], 3, v[4:5]
	scratch_store_b64 off, v[0:1], off offset:40 ; 8-byte Folded Spill
	v_add_nc_u32_e32 v0, v15, v14
	v_ashrrev_i32_e32 v1, 31, v0
	s_delay_alu instid0(VALU_DEP_1) | instskip(NEXT) | instid1(VALU_DEP_1)
	v_lshlrev_b64_e32 v[0:1], 3, v[0:1]
	v_add_co_u32 v0, vcc_lo, s12, v0
	s_wait_alu 0xfffd
	s_delay_alu instid0(VALU_DEP_2)
	v_add_co_ci_u32_e64 v1, null, s13, v1, vcc_lo
	v_add_co_u32 v2, vcc_lo, s12, v2
	s_wait_alu 0xfffd
	v_add_co_ci_u32_e64 v3, null, s13, v3, vcc_lo
	v_add_co_u32 v4, vcc_lo, s12, v4
	s_wait_alu 0xfffd
	;; [unrolled: 3-line block ×3, first 2 shown]
	v_add_co_ci_u32_e64 v9, null, s13, v9, vcc_lo
	s_clause 0x3
	global_load_b64 v[0:1], v[0:1], off
	global_load_b64 v[2:3], v[2:3], off
	;; [unrolled: 1-line block ×4, first 2 shown]
	v_add_co_u32 v10, vcc_lo, s12, v10
	s_wait_alu 0xfffd
	v_add_co_ci_u32_e64 v11, null, s13, v11, vcc_lo
	v_add_co_u32 v12, vcc_lo, s12, v12
	s_wait_alu 0xfffd
	v_add_co_ci_u32_e64 v13, null, s13, v13, vcc_lo
	;; [unrolled: 3-line block ×4, first 2 shown]
	scratch_store_b64 off, v[6:7], off offset:56 ; 8-byte Folded Spill
	s_clause 0x3
	global_load_b64 v[10:11], v[10:11], off
	global_load_b64 v[12:13], v[12:13], off
	;; [unrolled: 1-line block ×4, first 2 shown]
	s_wait_loadcnt 0x6
	v_add_f64_e64 v[6:7], v[0:1], -v[2:3]
	s_wait_loadcnt 0x4
	v_add_f64_e64 v[28:29], v[4:5], -v[8:9]
	;; [unrolled: 2-line block ×6, first 2 shown]
	s_wait_alu 0xfffe
	v_mul_f64_e32 v[6:7], s[0:1], v[6:7]
	v_mul_f64_e32 v[0:1], s[0:1], v[0:1]
	v_mul_f64_e32 v[2:3], s[0:1], v[2:3]
	v_mul_f64_e32 v[4:5], s[0:1], v[4:5]
	s_delay_alu instid0(VALU_DEP_4) | instskip(SKIP_1) | instid1(VALU_DEP_1)
	v_fma_f64 v[6:7], v[28:29], s[4:5], -v[6:7]
	v_add_f64_e64 v[28:29], v[10:11], -v[12:13]
	v_mul_f64_e32 v[28:29], s[0:1], v[28:29]
	s_delay_alu instid0(VALU_DEP_1) | instskip(SKIP_2) | instid1(VALU_DEP_2)
	v_fma_f64 v[28:29], v[32:33], s[4:5], -v[28:29]
	v_mul_f64_e32 v[32:33], v[98:99], v[150:151]
	v_dual_mov_b32 v99, v87 :: v_dual_mov_b32 v98, v86
	v_mul_f64_e32 v[32:33], v[150:151], v[32:33]
	s_delay_alu instid0(VALU_DEP_1) | instskip(SKIP_1) | instid1(VALU_DEP_1)
	v_mul_f64_e32 v[28:29], v[32:33], v[28:29]
	v_mul_f64_e32 v[32:33], v[56:57], v[48:49]
	;; [unrolled: 1-line block ×3, first 2 shown]
	s_delay_alu instid0(VALU_DEP_1) | instskip(SKIP_3) | instid1(VALU_DEP_3)
	v_fma_f64 v[6:7], v[32:33], v[6:7], -v[28:29]
	v_add_nc_u32_e32 v28, v23, v34
	v_add_nc_u32_e32 v32, v40, v34
	v_dual_mov_b32 v40, v144 :: v_dual_mov_b32 v41, v145
	v_ashrrev_i32_e32 v29, 31, v28
	s_delay_alu instid0(VALU_DEP_3) | instskip(NEXT) | instid1(VALU_DEP_2)
	v_ashrrev_i32_e32 v33, 31, v32
	v_lshlrev_b64_e32 v[28:29], 3, v[28:29]
	s_delay_alu instid0(VALU_DEP_2) | instskip(SKIP_2) | instid1(VALU_DEP_1)
	v_lshlrev_b64_e32 v[32:33], 3, v[32:33]
	scratch_store_b64 off, v[6:7], off offset:48 ; 8-byte Folded Spill
	v_add_nc_u32_e32 v6, v15, v34
	v_ashrrev_i32_e32 v7, 31, v6
	s_delay_alu instid0(VALU_DEP_1) | instskip(NEXT) | instid1(VALU_DEP_1)
	v_lshlrev_b64_e32 v[6:7], 3, v[6:7]
	v_add_co_u32 v6, vcc_lo, s12, v6
	s_wait_alu 0xfffd
	s_delay_alu instid0(VALU_DEP_2)
	v_add_co_ci_u32_e64 v7, null, s13, v7, vcc_lo
	v_add_co_u32 v28, vcc_lo, s12, v28
	s_wait_alu 0xfffd
	v_add_co_ci_u32_e64 v29, null, s13, v29, vcc_lo
	v_add_co_u32 v32, vcc_lo, s12, v32
	s_wait_alu 0xfffd
	;; [unrolled: 3-line block ×3, first 2 shown]
	v_add_co_ci_u32_e64 v37, null, s13, v37, vcc_lo
	s_clause 0x3
	global_load_b64 v[6:7], v[6:7], off
	global_load_b64 v[28:29], v[28:29], off
	;; [unrolled: 1-line block ×4, first 2 shown]
	v_add_co_u32 v60, vcc_lo, s12, v60
	s_wait_alu 0xfffd
	v_add_co_ci_u32_e64 v61, null, s13, v61, vcc_lo
	v_add_co_u32 v72, vcc_lo, s12, v72
	s_wait_alu 0xfffd
	v_add_co_ci_u32_e64 v73, null, s13, v73, vcc_lo
	;; [unrolled: 3-line block ×4, first 2 shown]
	s_wait_loadcnt 0x2
	v_add_f64_e64 v[88:89], v[6:7], -v[28:29]
	s_wait_loadcnt 0x0
	v_add_f64_e64 v[100:101], v[32:33], -v[36:37]
	s_delay_alu instid0(VALU_DEP_2) | instskip(NEXT) | instid1(VALU_DEP_1)
	v_mul_f64_e32 v[88:89], s[0:1], v[88:89]
	v_fma_f64 v[88:89], v[100:101], s[4:5], -v[88:89]
	s_clause 0x3
	global_load_b64 v[60:61], v[60:61], off
	global_load_b64 v[100:101], v[72:73], off
	;; [unrolled: 1-line block ×4, first 2 shown]
	s_wait_loadcnt 0x3
	v_add_f64_e64 v[6:7], v[6:7], -v[60:61]
	s_wait_loadcnt 0x2
	v_add_f64_e64 v[72:73], v[60:61], -v[100:101]
	v_add_f64_e64 v[12:13], v[28:29], -v[100:101]
	s_wait_loadcnt 0x0
	v_add_f64_e64 v[74:75], v[102:103], -v[78:79]
	s_delay_alu instid0(VALU_DEP_4) | instskip(NEXT) | instid1(VALU_DEP_4)
	v_fma_f64 v[0:1], v[6:7], s[4:5], -v[0:1]
	v_mul_f64_e32 v[72:73], s[0:1], v[72:73]
	s_delay_alu instid0(VALU_DEP_4) | instskip(SKIP_1) | instid1(VALU_DEP_3)
	v_fma_f64 v[2:3], v[12:13], s[4:5], -v[2:3]
	v_add_f64_e64 v[6:7], v[36:37], -v[78:79]
	v_fma_f64 v[72:73], v[74:75], s[4:5], -v[72:73]
	v_mul_f64_e32 v[74:75], v[114:115], v[84:85]
	s_delay_alu instid0(VALU_DEP_4) | instskip(NEXT) | instid1(VALU_DEP_2)
	v_mul_f64_e32 v[2:3], v[168:169], v[2:3]
	v_mul_f64_e32 v[74:75], v[84:85], v[74:75]
	v_dual_mov_b32 v84, v134 :: v_dual_mov_b32 v85, v135
	s_delay_alu instid0(VALU_DEP_2) | instskip(SKIP_1) | instid1(VALU_DEP_1)
	v_mul_f64_e32 v[72:73], v[74:75], v[72:73]
	v_mul_f64_e32 v[74:75], v[134:135], v[86:87]
	;; [unrolled: 1-line block ×3, first 2 shown]
	s_delay_alu instid0(VALU_DEP_1)
	v_fma_f64 v[14:15], v[74:75], v[88:89], -v[72:73]
	v_fma_f64 v[74:75], v[186:187], v[0:1], -v[2:3]
	v_add_f64_e64 v[0:1], v[8:9], -v[21:22]
	v_add_f64_e64 v[2:3], v[32:33], -v[102:103]
	v_mul_f64_e32 v[20:21], v[80:81], v[164:165]
	scratch_store_b64 off, v[14:15], off offset:64 ; 8-byte Folded Spill
	v_mul_f64_e32 v[0:1], s[0:1], v[0:1]
	v_fma_f64 v[2:3], v[2:3], s[4:5], -v[4:5]
	s_delay_alu instid0(VALU_DEP_2) | instskip(NEXT) | instid1(VALU_DEP_1)
	v_fma_f64 v[0:1], v[6:7], s[4:5], -v[0:1]
	v_mul_f64_e32 v[0:1], v[148:149], v[0:1]
	v_add_f64_e64 v[148:149], v[76:77], -v[68:69]
	s_delay_alu instid0(VALU_DEP_2)
	v_fma_f64 v[186:187], v[160:161], v[2:3], -v[0:1]
	v_mul_f64_e32 v[0:1], v[182:183], v[184:185]
	s_clause 0x3
	global_load_b64 v[32:33], v[42:43], off offset:16
	global_load_b128 v[182:185], v[42:43], off offset:-16
	global_load_b64 v[14:15], v[30:31], off offset:16
	global_load_b128 v[100:103], v[30:31], off offset:-16
	v_add_co_u32 v2, vcc_lo, s18, v54
	s_wait_alu 0xfffd
	v_add_co_ci_u32_e64 v3, null, s19, v55, vcc_lo
	s_clause 0x1
	global_load_b64 v[30:31], v[146:147], off offset:16
	global_load_b64 v[36:37], v[24:25], off offset:16
	global_load_b64 v[12:13], v[2:3], off
	v_mul_f64_e32 v[2:3], v[144:145], v[180:181]
	s_wait_loadcnt 0x5
	v_add_f64_e64 v[4:5], v[32:33], -v[182:183]
	v_add_f64_e64 v[6:7], v[82:83], -v[184:185]
	s_wait_loadcnt 0x3
	v_add_f64_e64 v[8:9], v[76:77], -v[102:103]
	s_wait_loadcnt 0x0
	s_delay_alu instid0(VALU_DEP_4) | instskip(SKIP_2) | instid1(VALU_DEP_1)
	v_mul_f64_e32 v[16:17], v[2:3], v[12:13]
	v_mul_f64_e32 v[0:1], v[0:1], v[12:13]
	;; [unrolled: 1-line block ×3, first 2 shown]
	v_fma_f64 v[4:5], v[6:7], s[4:5], -v[4:5]
	v_add_f64_e64 v[6:7], v[14:15], -v[100:101]
	s_delay_alu instid0(VALU_DEP_1) | instskip(NEXT) | instid1(VALU_DEP_1)
	v_mul_f64_e32 v[6:7], s[0:1], v[6:7]
	v_fma_f64 v[6:7], v[8:9], s[4:5], -v[6:7]
	s_delay_alu instid0(VALU_DEP_1) | instskip(NEXT) | instid1(VALU_DEP_1)
	v_mul_f64_e32 v[2:3], v[16:17], v[6:7]
	v_mul_f64_e32 v[2:3], v[128:129], v[2:3]
	s_delay_alu instid0(VALU_DEP_1) | instskip(NEXT) | instid1(VALU_DEP_1)
	v_mul_f64_e32 v[2:3], v[120:121], v[2:3]
	v_fma_f64 v[78:79], v[0:1], v[4:5], v[2:3]
	v_add_co_u32 v0, vcc_lo, s18, v142
	s_wait_alu 0xfffd
	v_add_co_ci_u32_e64 v1, null, s19, v143, vcc_lo
	scratch_load_b128 v[3:6], off, off offset:344 th:TH_LOAD_LU ; 16-byte Folded Reload
	global_load_b128 v[142:145], v[146:147], off offset:-16
	global_load_b64 v[76:77], v[0:1], off
	v_mul_f64_e32 v[0:1], v[90:91], v[158:159]
	s_wait_loadcnt 0x2
	v_add_f64_e64 v[3:4], v[82:83], -v[5:6]
	s_wait_loadcnt 0x1
	v_add_f64_e64 v[5:6], v[5:6], -v[144:145]
	v_add_f64_e64 v[160:161], v[182:183], -v[142:143]
	;; [unrolled: 1-line block ×4, first 2 shown]
	global_load_b128 v[142:145], v[24:25], off offset:-16
	s_wait_loadcnt 0x1
	v_mul_f64_e32 v[134:135], v[0:1], v[76:77]
	v_dual_mov_b32 v82, v118 :: v_dual_mov_b32 v83, v119
	v_mul_f64_e32 v[2:3], s[0:1], v[3:4]
	v_mul_f64_e32 v[7:8], s[0:1], v[7:8]
	s_delay_alu instid0(VALU_DEP_1)
	v_fma_f64 v[5:6], v[5:6], s[4:5], -v[7:8]
	s_wait_loadcnt 0x0
	v_add_f64_e64 v[18:19], v[36:37], -v[142:143]
	v_add_f64_e64 v[9:10], v[68:69], -v[144:145]
	;; [unrolled: 1-line block ×4, first 2 shown]
	s_delay_alu instid0(VALU_DEP_4) | instskip(NEXT) | instid1(VALU_DEP_1)
	v_mul_f64_e32 v[7:8], s[0:1], v[18:19]
	v_fma_f64 v[7:8], v[9:10], s[4:5], -v[7:8]
	s_delay_alu instid0(VALU_DEP_1) | instskip(SKIP_1) | instid1(VALU_DEP_2)
	v_mul_f64_e32 v[0:1], v[134:135], v[7:8]
	v_mul_f64_e32 v[7:8], v[20:21], v[76:77]
	;; [unrolled: 1-line block ×3, first 2 shown]
	s_delay_alu instid0(VALU_DEP_1) | instskip(NEXT) | instid1(VALU_DEP_1)
	v_mul_f64_e32 v[0:1], v[120:121], v[0:1]
	v_fma_f64 v[72:73], v[7:8], v[5:6], v[0:1]
	s_clause 0x3
	global_load_b64 v[60:61], v[176:177], off offset:16
	global_load_b128 v[8:11], v[176:177], off offset:-16
	global_load_b64 v[88:89], v[26:27], off offset:16
	global_load_b128 v[100:103], v[26:27], off offset:-16
	v_add_co_u32 v0, vcc_lo, s18, v178
	s_wait_alu 0xfffd
	v_add_co_ci_u32_e64 v1, null, s19, v179, vcc_lo
	global_load_b128 v[142:145], v[154:155], off offset:-16
	v_mul_f64_e32 v[5:6], v[92:93], v[156:157]
	v_add_f64_e64 v[156:157], v[104:105], -v[52:53]
	global_load_b64 v[28:29], v[0:1], off
	v_mul_f64_e32 v[0:1], v[124:125], v[106:107]
	s_wait_loadcnt 0x4
	v_add_f64_e64 v[18:19], v[60:61], -v[8:9]
	v_add_f64_e64 v[20:21], v[109:110], -v[10:11]
	s_wait_loadcnt 0x2
	v_add_f64_e64 v[26:27], v[104:105], -v[102:103]
	s_wait_loadcnt 0x1
	;; [unrolled: 2-line block ×3, first 2 shown]
	v_mul_f64_e32 v[5:6], v[5:6], v[28:29]
	v_mul_f64_e32 v[18:19], s[0:1], v[18:19]
	s_delay_alu instid0(VALU_DEP_1) | instskip(SKIP_1) | instid1(VALU_DEP_1)
	v_fma_f64 v[20:21], v[20:21], s[4:5], -v[18:19]
	v_add_f64_e64 v[18:19], v[88:89], -v[100:101]
	v_mul_f64_e32 v[18:19], s[0:1], v[18:19]
	s_delay_alu instid0(VALU_DEP_1) | instskip(SKIP_1) | instid1(VALU_DEP_1)
	v_fma_f64 v[26:27], v[26:27], s[4:5], -v[18:19]
	v_mul_f64_e32 v[18:19], v[0:1], v[28:29]
	v_mul_f64_e32 v[0:1], v[18:19], v[26:27]
	scratch_load_b128 v[24:27], off, off offset:312 th:TH_LOAD_LU ; 16-byte Folded Reload
	v_mul_f64_e32 v[0:1], v[128:129], v[0:1]
	s_delay_alu instid0(VALU_DEP_1) | instskip(NEXT) | instid1(VALU_DEP_1)
	v_mul_f64_e32 v[0:1], v[120:121], v[0:1]
	v_fma_f64 v[48:49], v[5:6], v[20:21], v[0:1]
	v_add_co_u32 v0, vcc_lo, s18, v162
	s_wait_alu 0xfffd
	v_add_co_ci_u32_e64 v1, null, s19, v163, vcc_lo
	v_mul_f64_e32 v[20:21], v[94:95], v[152:153]
	v_add_f64_e64 v[162:163], v[8:9], -v[142:143]
	global_load_b64 v[9:10], v[154:155], off offset:16
	s_wait_loadcnt 0x1
	v_dual_mov_b32 v5, v26 :: v_dual_mov_b32 v6, v27
	s_delay_alu instid0(VALU_DEP_1)
	v_add_f64_e64 v[152:153], v[109:110], -v[5:6]
	v_add_f64_e64 v[26:27], v[5:6], -v[144:145]
	global_load_b128 v[5:8], v[62:63], off offset:-16
	v_fma_f64 v[2:3], v[152:153], s[4:5], -v[2:3]
	s_wait_loadcnt 0x1
	v_add_f64_e64 v[42:43], v[9:10], -v[142:143]
	v_add_f64_e64 v[9:10], v[60:61], -v[9:10]
	s_delay_alu instid0(VALU_DEP_2)
	v_mul_f64_e32 v[24:25], s[0:1], v[42:43]
	global_load_b64 v[42:43], v[0:1], off
	v_mul_f64_e32 v[0:1], v[118:119], v[122:123]
	v_fma_f64 v[24:25], v[26:27], s[4:5], -v[24:25]
	s_wait_loadcnt 0x1
	v_add_f64_e64 v[52:53], v[52:53], -v[7:8]
	v_add_f64_e64 v[154:155], v[102:103], -v[7:8]
	global_load_b64 v[7:8], v[62:63], off offset:16
	v_add_f64_e64 v[66:67], v[100:101], -v[5:6]
	s_wait_loadcnt 0x0
	v_add_f64_e64 v[5:6], v[7:8], -v[5:6]
	v_add_f64_e64 v[7:8], v[88:89], -v[7:8]
	s_delay_alu instid0(VALU_DEP_2) | instskip(NEXT) | instid1(VALU_DEP_1)
	v_mul_f64_e32 v[5:6], s[0:1], v[5:6]
	v_fma_f64 v[5:6], v[52:53], s[4:5], -v[5:6]
	v_mul_f64_e32 v[52:53], v[0:1], v[42:43]
	s_delay_alu instid0(VALU_DEP_1) | instskip(SKIP_1) | instid1(VALU_DEP_2)
	v_mul_f64_e32 v[0:1], v[52:53], v[5:6]
	v_mul_f64_e32 v[5:6], v[20:21], v[42:43]
	;; [unrolled: 1-line block ×3, first 2 shown]
	s_delay_alu instid0(VALU_DEP_1) | instskip(NEXT) | instid1(VALU_DEP_1)
	v_mul_f64_e32 v[0:1], v[120:121], v[0:1]
	v_fma_f64 v[20:21], v[5:6], v[24:25], v[0:1]
	v_add_f64_e64 v[0:1], v[14:15], -v[36:37]
	s_clause 0x1
	scratch_load_b64 v[36:37], off, off offset:280 th:TH_LOAD_LU
	scratch_load_b64 v[24:25], off, off offset:272 th:TH_LOAD_LU
	v_add_f64_e64 v[20:21], v[48:49], -v[20:21]
	v_mul_f64_e32 v[0:1], s[0:1], v[0:1]
	s_delay_alu instid0(VALU_DEP_1)
	v_fma_f64 v[0:1], v[7:8], s[4:5], -v[0:1]
	s_wait_loadcnt 0x1
	global_load_b64 v[5:6], v[36:37], off offset:16
	s_wait_loadcnt 0x1
	global_load_b64 v[14:15], v[24:25], off offset:16
	s_wait_loadcnt 0x1
	v_mul_f64_e32 v[5:6], v[174:175], v[5:6]
	s_wait_loadcnt 0x0
	v_mul_f64_e32 v[14:15], v[174:175], v[14:15]
	s_delay_alu instid0(VALU_DEP_2) | instskip(NEXT) | instid1(VALU_DEP_2)
	v_mul_f64_e32 v[5:6], v[172:173], v[5:6]
	v_mul_f64_e32 v[7:8], v[172:173], v[14:15]
	s_delay_alu instid0(VALU_DEP_1) | instskip(SKIP_2) | instid1(VALU_DEP_3)
	v_mul_f64_e32 v[0:1], v[0:1], v[7:8]
	v_add_f64_e64 v[7:8], v[32:33], -v[30:31]
	v_mul_f64_e32 v[30:31], v[166:167], v[190:191]
	v_mul_f64_e32 v[0:1], v[170:171], v[0:1]
	s_delay_alu instid0(VALU_DEP_3) | instskip(NEXT) | instid1(VALU_DEP_2)
	v_mul_f64_e32 v[7:8], s[0:1], v[7:8]
	v_mul_f64_e32 v[0:1], v[120:121], v[0:1]
	s_delay_alu instid0(VALU_DEP_2) | instskip(NEXT) | instid1(VALU_DEP_1)
	v_fma_f64 v[7:8], v[9:10], s[4:5], -v[7:8]
	v_fma_f64 v[14:15], v[7:8], v[5:6], v[0:1]
	scratch_load_b128 v[5:8], off, off th:TH_LOAD_LU ; 16-byte Folded Reload
	global_load_b128 v[24:27], v[24:25], off offset:-16
	s_wait_loadcnt 0x1
	scratch_load_b64 v[5:6], off, off offset:240 th:TH_LOAD_LU ; 8-byte Folded Reload
	v_mul_f64_e32 v[0:1], s[0:1], v[34:35]
	s_clause 0x2
	scratch_load_b128 v[32:35], off, off offset:248 th:TH_LOAD_LU
	scratch_load_b128 v[54:57], off, off offset:208 th:TH_LOAD_LU
	;; [unrolled: 1-line block ×3, first 2 shown]
	v_fma_f64 v[164:165], v[66:67], s[4:5], -v[0:1]
	v_mul_f64_e32 v[158:159], v[166:167], v[7:8]
	global_load_b128 v[8:11], v[36:37], off offset:-16
	s_wait_loadcnt 0x4
	v_mul_f64_e32 v[0:1], v[5:6], v[24:25]
	s_wait_loadcnt 0x3
	s_delay_alu instid0(VALU_DEP_1) | instskip(NEXT) | instid1(VALU_DEP_1)
	v_mul_f64_e32 v[0:1], v[32:33], v[0:1]
	v_mul_f64_e32 v[136:137], v[164:165], v[0:1]
	;; [unrolled: 1-line block ×3, first 2 shown]
	s_delay_alu instid0(VALU_DEP_1) | instskip(SKIP_2) | instid1(VALU_DEP_4)
	v_fma_f64 v[24:25], v[162:163], s[4:5], -v[0:1]
	s_wait_loadcnt 0x0
	v_mul_f64_e32 v[0:1], v[5:6], v[8:9]
	v_mul_f64_e32 v[5:6], v[54:55], v[136:137]
	s_clause 0x1
	scratch_load_b32 v55, off, off offset:200 th:TH_LOAD_LU
	scratch_load_b32 v54, off, off offset:196 th:TH_LOAD_LU
	v_mul_f64_e32 v[0:1], v[32:33], v[0:1]
	v_mul_f64_e32 v[5:6], v[120:121], v[5:6]
	s_delay_alu instid0(VALU_DEP_1) | instskip(SKIP_2) | instid1(VALU_DEP_2)
	v_fma_f64 v[8:9], v[24:25], v[0:1], v[5:6]
	v_dual_mov_b32 v5, v62 :: v_dual_mov_b32 v6, v63
	v_mul_f64_e32 v[24:25], s[0:1], v[148:149]
	v_mul_f64_e32 v[0:1], v[5:6], v[30:31]
	scratch_load_b64 v[30:31], off, off offset:188 th:TH_LOAD_LU ; 8-byte Folded Reload
	v_mul_f64_e32 v[5:6], v[5:6], v[158:159]
	v_add_f64_e64 v[8:9], v[14:15], -v[8:9]
	v_fma_f64 v[24:25], v[156:157], s[4:5], -v[24:25]
	s_delay_alu instid0(VALU_DEP_2) | instskip(NEXT) | instid1(VALU_DEP_2)
	v_mul_f64_e32 v[8:9], s[0:1], v[8:9]
	v_mul_f64_e32 v[5:6], v[24:25], v[5:6]
	s_delay_alu instid0(VALU_DEP_1) | instskip(NEXT) | instid1(VALU_DEP_1)
	v_mul_f64_e32 v[5:6], v[130:131], v[5:6]
	v_mul_f64_e32 v[4:5], v[120:121], v[5:6]
	s_wait_loadcnt 0x0
	v_mul_f64_e32 v[24:25], v[30:31], v[10:11]
	v_mul_f64_e32 v[26:27], v[30:31], v[26:27]
	s_delay_alu instid0(VALU_DEP_3) | instskip(SKIP_3) | instid1(VALU_DEP_1)
	v_fma_f64 v[10:11], v[2:3], v[0:1], v[4:5]
	v_mul_f64_e32 v[4:5], s[0:1], v[146:147]
	v_dual_mov_b32 v2, v34 :: v_dual_mov_b32 v3, v35
	v_add3_u32 v30, v54, v127, s6
	v_ashrrev_i32_e32 v31, 31, v30
	s_delay_alu instid0(VALU_DEP_3) | instskip(SKIP_1) | instid1(VALU_DEP_3)
	v_mul_f64_e32 v[0:1], v[2:3], v[24:25]
	v_mul_f64_e32 v[2:3], v[2:3], v[26:27]
	v_lshlrev_b64_e32 v[24:25], 3, v[30:31]
	v_fma_f64 v[4:5], v[154:155], s[4:5], -v[4:5]
	v_add_nc_u32_e32 v30, s6, v30
	s_delay_alu instid0(VALU_DEP_1) | instskip(NEXT) | instid1(VALU_DEP_1)
	v_ashrrev_i32_e32 v31, 31, v30
	v_lshlrev_b64_e32 v[60:61], 3, v[30:31]
	s_delay_alu instid0(VALU_DEP_4) | instskip(SKIP_1) | instid1(VALU_DEP_2)
	v_mul_f64_e32 v[2:3], v[4:5], v[2:3]
	v_mul_f64_e32 v[4:5], s[0:1], v[22:23]
	;; [unrolled: 1-line block ×3, first 2 shown]
	scratch_load_b32 v56, off, off offset:204 th:TH_LOAD_LU ; 4-byte Folded Reload
	v_fma_f64 v[4:5], v[150:151], s[4:5], -v[4:5]
	v_mul_f64_e32 v[2:3], v[120:121], v[2:3]
	s_delay_alu instid0(VALU_DEP_1) | instskip(SKIP_3) | instid1(VALU_DEP_3)
	v_fma_f64 v[183:184], v[4:5], v[0:1], v[2:3]
	v_add3_u32 v0, v108, v127, s6
	v_add3_u32 v3, v55, v127, s6
	v_dual_mov_b32 v38, v124 :: v_dual_mov_b32 v39, v125
	v_ashrrev_i32_e32 v1, 31, v0
	s_delay_alu instid0(VALU_DEP_3) | instskip(NEXT) | instid1(VALU_DEP_2)
	v_ashrrev_i32_e32 v4, 31, v3
	v_lshlrev_b64_e32 v[1:2], 3, v[0:1]
	s_delay_alu instid0(VALU_DEP_2) | instskip(NEXT) | instid1(VALU_DEP_2)
	v_lshlrev_b64_e32 v[4:5], 3, v[3:4]
	v_add_co_u32 v1, vcc_lo, s12, v1
	s_wait_alu 0xfffd
	s_delay_alu instid0(VALU_DEP_3) | instskip(NEXT) | instid1(VALU_DEP_3)
	v_add_co_ci_u32_e64 v2, null, s13, v2, vcc_lo
	v_add_co_u32 v4, vcc_lo, s12, v4
	s_wait_alu 0xfffd
	v_add_co_ci_u32_e64 v5, null, s13, v5, vcc_lo
	v_add_f64_e64 v[10:11], v[10:11], -v[183:184]
	s_delay_alu instid0(VALU_DEP_1) | instskip(SKIP_2) | instid1(VALU_DEP_1)
	v_fma_f64 v[8:9], v[10:11], s[4:5], -v[8:9]
	s_wait_loadcnt 0x0
	v_add3_u32 v6, v56, v127, s6
	v_ashrrev_i32_e32 v7, 31, v6
	s_delay_alu instid0(VALU_DEP_1) | instskip(NEXT) | instid1(VALU_DEP_1)
	v_lshlrev_b64_e32 v[22:23], 3, v[6:7]
	v_add_co_u32 v22, vcc_lo, s12, v22
	s_wait_alu 0xfffd
	s_delay_alu instid0(VALU_DEP_2) | instskip(SKIP_4) | instid1(VALU_DEP_2)
	v_add_co_ci_u32_e64 v23, null, s13, v23, vcc_lo
	v_add_co_u32 v32, vcc_lo, s12, v24
	v_add_nc_u32_e32 v24, s6, v0
	s_wait_alu 0xfffd
	v_add_co_ci_u32_e64 v33, null, s13, v25, vcc_lo
	v_ashrrev_i32_e32 v25, 31, v24
	s_delay_alu instid0(VALU_DEP_1) | instskip(NEXT) | instid1(VALU_DEP_1)
	v_lshlrev_b64_e32 v[25:26], 3, v[24:25]
	v_add_co_u32 v34, vcc_lo, s12, v25
	v_add_nc_u32_e32 v25, s6, v3
	s_wait_alu 0xfffd
	s_delay_alu instid0(VALU_DEP_3) | instskip(NEXT) | instid1(VALU_DEP_2)
	v_add_co_ci_u32_e64 v35, null, s13, v26, vcc_lo
	v_ashrrev_i32_e32 v26, 31, v25
	s_delay_alu instid0(VALU_DEP_1) | instskip(NEXT) | instid1(VALU_DEP_1)
	v_lshlrev_b64_e32 v[26:27], 3, v[25:26]
	v_add_co_u32 v36, vcc_lo, s12, v26
	v_add_nc_u32_e32 v26, s6, v6
	s_wait_alu 0xfffd
	s_delay_alu instid0(VALU_DEP_3) | instskip(NEXT) | instid1(VALU_DEP_2)
	v_add_co_ci_u32_e64 v37, null, s13, v27, vcc_lo
	v_ashrrev_i32_e32 v27, 31, v26
	s_delay_alu instid0(VALU_DEP_1) | instskip(NEXT) | instid1(VALU_DEP_1)
	v_lshlrev_b64_e32 v[6:7], 3, v[26:27]
	v_add_co_u32 v6, vcc_lo, s12, v6
	s_wait_alu 0xfffd
	s_delay_alu instid0(VALU_DEP_2)
	v_add_co_ci_u32_e64 v7, null, s13, v7, vcc_lo
	v_add_co_u32 v60, vcc_lo, s12, v60
	s_wait_alu 0xfffd
	v_add_co_ci_u32_e64 v61, null, s13, v61, vcc_lo
	s_clause 0x7
	global_load_b64 v[149:150], v[34:35], off
	global_load_b64 v[155:156], v[36:37], off
	;; [unrolled: 1-line block ×8, first 2 shown]
	scratch_load_b32 v4, off, off offset:132 th:TH_LOAD_LU ; 4-byte Folded Reload
	s_wait_loadcnt 0x7
	v_add_f64_e64 v[6:7], v[149:150], -v[155:156]
	s_wait_loadcnt 0x3
	v_add_f64_e64 v[0:1], v[151:152], -v[147:148]
	v_add_f64_e64 v[34:35], v[157:158], -v[153:154]
	s_wait_loadcnt 0x1
	v_add_f64_e64 v[2:3], v[145:146], -v[118:119]
	s_wait_loadcnt 0x0
	v_mov_b32_e32 v22, v4
	v_mul_f64_e32 v[6:7], s[0:1], v[6:7]
	v_mul_f64_e32 v[0:1], s[0:1], v[0:1]
	s_delay_alu instid0(VALU_DEP_2) | instskip(SKIP_1) | instid1(VALU_DEP_3)
	v_fma_f64 v[6:7], v[34:35], s[4:5], -v[6:7]
	v_mul_f64_e32 v[34:35], v[132:133], v[12:13]
	v_fma_f64 v[0:1], v[2:3], s[4:5], -v[0:1]
	s_delay_alu instid0(VALU_DEP_2) | instskip(NEXT) | instid1(VALU_DEP_1)
	v_mul_f64_e32 v[6:7], v[34:35], v[6:7]
	v_mul_f64_e32 v[2:3], v[138:139], v[6:7]
	v_add3_u32 v6, v56, v22, s6
	v_add3_u32 v22, v54, v22, s6
	s_delay_alu instid0(VALU_DEP_2) | instskip(NEXT) | instid1(VALU_DEP_2)
	v_ashrrev_i32_e32 v7, 31, v6
	v_ashrrev_i32_e32 v23, 31, v22
	v_add_nc_u32_e32 v132, s6, v6
	v_add_nc_u32_e32 v136, s6, v22
	s_delay_alu instid0(VALU_DEP_3) | instskip(NEXT) | instid1(VALU_DEP_3)
	v_lshlrev_b64_e32 v[31:32], 3, v[22:23]
	v_ashrrev_i32_e32 v133, 31, v132
	s_delay_alu instid0(VALU_DEP_3) | instskip(SKIP_1) | instid1(VALU_DEP_2)
	v_ashrrev_i32_e32 v137, 31, v136
	v_add_nc_u32_e32 v59, s6, v136
	v_lshlrev_b64_e32 v[22:23], 3, v[136:137]
	v_mul_f64_e32 v[2:3], v[64:65], v[2:3]
	s_delay_alu instid0(VALU_DEP_1) | instskip(SKIP_4) | instid1(VALU_DEP_4)
	v_fma_f64 v[181:182], v[16:17], v[0:1], v[2:3]
	v_add3_u32 v0, v108, v4, s6
	v_add3_u32 v3, v55, v4, s6
	v_lshlrev_b64_e32 v[16:17], 3, v[6:7]
	v_lshlrev_b64_e32 v[6:7], 3, v[132:133]
	v_ashrrev_i32_e32 v1, 31, v0
	s_delay_alu instid0(VALU_DEP_4)
	v_ashrrev_i32_e32 v4, 31, v3
	v_add_nc_u32_e32 v124, s6, v0
	v_add_nc_u32_e32 v128, s6, v3
	v_mov_b32_e32 v110, v85
	v_lshlrev_b64_e32 v[1:2], 3, v[0:1]
	v_lshlrev_b64_e32 v[4:5], 3, v[3:4]
	v_ashrrev_i32_e32 v125, 31, v124
	v_ashrrev_i32_e32 v129, 31, v128
	v_mov_b32_e32 v109, v84
	v_add_co_u32 v1, vcc_lo, s12, v1
	s_wait_alu 0xfffd
	v_add_co_ci_u32_e64 v2, null, s13, v2, vcc_lo
	v_add_co_u32 v4, vcc_lo, s12, v4
	v_lshlrev_b64_e32 v[33:34], 3, v[124:125]
	s_wait_alu 0xfffd
	v_add_co_ci_u32_e64 v5, null, s13, v5, vcc_lo
	v_add_co_u32 v16, vcc_lo, s12, v16
	v_lshlrev_b64_e32 v[35:36], 3, v[128:129]
	s_wait_alu 0xfffd
	v_add_co_ci_u32_e64 v17, null, s13, v17, vcc_lo
	v_add_co_u32 v31, vcc_lo, s12, v31
	s_wait_alu 0xfffd
	v_add_co_ci_u32_e64 v32, null, s13, v32, vcc_lo
	v_add_co_u32 v33, vcc_lo, s12, v33
	s_wait_alu 0xfffd
	v_add_co_ci_u32_e64 v34, null, s13, v34, vcc_lo
	v_add_co_u32 v35, vcc_lo, s12, v35
	s_wait_alu 0xfffd
	v_add_co_ci_u32_e64 v36, null, s13, v36, vcc_lo
	v_add_co_u32 v6, vcc_lo, s12, v6
	s_wait_alu 0xfffd
	v_add_co_ci_u32_e64 v7, null, s13, v7, vcc_lo
	v_add_co_u32 v22, vcc_lo, s12, v22
	s_wait_alu 0xfffd
	v_add_co_ci_u32_e64 v23, null, s13, v23, vcc_lo
	s_clause 0x3
	global_load_b64 v[165:166], v[33:34], off
	global_load_b64 v[171:172], v[35:36], off
	;; [unrolled: 1-line block ×4, first 2 shown]
	s_wait_loadcnt 0x2
	v_add_f64_e64 v[6:7], v[165:166], -v[171:172]
	s_wait_loadcnt 0x0
	v_add_f64_e64 v[22:23], v[173:174], -v[169:170]
	s_delay_alu instid0(VALU_DEP_2) | instskip(NEXT) | instid1(VALU_DEP_1)
	v_mul_f64_e32 v[6:7], s[0:1], v[6:7]
	v_fma_f64 v[6:7], v[22:23], s[4:5], -v[6:7]
	scratch_load_b64 v[22:23], off, off offset:336 th:TH_LOAD_LU ; 8-byte Folded Reload
	s_clause 0x3
	global_load_b64 v[167:168], v[1:2], off
	global_load_b64 v[163:164], v[4:5], off
	;; [unrolled: 1-line block ×4, first 2 shown]
	scratch_load_b32 v4, off, off offset:184 th:TH_LOAD_LU ; 4-byte Folded Reload
	s_wait_loadcnt 0x3
	v_add_f64_e64 v[0:1], v[167:168], -v[163:164]
	v_mul_f64_e32 v[22:23], v[22:23], v[76:77]
	s_wait_loadcnt 0x1
	v_add_f64_e64 v[2:3], v[161:162], -v[68:69]
	s_wait_loadcnt 0x0
	v_mov_b32_e32 v27, v4
	s_delay_alu instid0(VALU_DEP_1) | instskip(NEXT) | instid1(VALU_DEP_1)
	v_add3_u32 v31, v54, v27, s6
	v_ashrrev_i32_e32 v32, 31, v31
	s_delay_alu instid0(VALU_DEP_1) | instskip(SKIP_2) | instid1(VALU_DEP_2)
	v_lshlrev_b64_e32 v[32:33], 3, v[31:32]
	v_mul_f64_e32 v[0:1], s[0:1], v[0:1]
	v_mul_f64_e32 v[6:7], v[22:23], v[6:7]
	v_fma_f64 v[0:1], v[2:3], s[4:5], -v[0:1]
	s_delay_alu instid0(VALU_DEP_2) | instskip(SKIP_1) | instid1(VALU_DEP_1)
	v_mul_f64_e32 v[2:3], v[138:139], v[6:7]
	v_add3_u32 v6, v56, v27, s6
	v_add_nc_u32_e32 v133, s6, v6
	v_ashrrev_i32_e32 v7, 31, v6
	s_delay_alu instid0(VALU_DEP_1) | instskip(SKIP_1) | instid1(VALU_DEP_1)
	v_lshlrev_b64_e32 v[22:23], 3, v[6:7]
	v_mul_f64_e32 v[2:3], v[64:65], v[2:3]
	v_fma_f64 v[16:17], v[134:135], v[0:1], v[2:3]
	v_add3_u32 v0, v108, v4, s6
	v_add3_u32 v3, v55, v4, s6
	v_ashrrev_i32_e32 v134, 31, v133
	s_delay_alu instid0(VALU_DEP_3) | instskip(SKIP_1) | instid1(VALU_DEP_4)
	v_add_nc_u32_e32 v125, s6, v0
	v_ashrrev_i32_e32 v1, 31, v0
	v_ashrrev_i32_e32 v4, 31, v3
	s_delay_alu instid0(VALU_DEP_4) | instskip(SKIP_4) | instid1(VALU_DEP_4)
	v_lshlrev_b64_e32 v[6:7], 3, v[133:134]
	v_add_nc_u32_e32 v134, s6, v31
	v_ashrrev_i32_e32 v126, 31, v125
	v_lshlrev_b64_e32 v[1:2], 3, v[0:1]
	v_lshlrev_b64_e32 v[4:5], 3, v[3:4]
	v_ashrrev_i32_e32 v135, 31, v134
	s_delay_alu instid0(VALU_DEP_4) | instskip(SKIP_4) | instid1(VALU_DEP_3)
	v_lshlrev_b64_e32 v[34:35], 3, v[125:126]
	v_add_nc_u32_e32 v126, s6, v3
	v_add_co_u32 v1, vcc_lo, s12, v1
	s_wait_alu 0xfffd
	v_add_co_ci_u32_e64 v2, null, s13, v2, vcc_lo
	v_ashrrev_i32_e32 v127, 31, v126
	v_add_co_u32 v4, vcc_lo, s12, v4
	s_wait_alu 0xfffd
	v_add_co_ci_u32_e64 v5, null, s13, v5, vcc_lo
	v_add_co_u32 v22, vcc_lo, s12, v22
	v_lshlrev_b64_e32 v[36:37], 3, v[126:127]
	s_wait_alu 0xfffd
	v_add_co_ci_u32_e64 v23, null, s13, v23, vcc_lo
	v_add_co_u32 v32, vcc_lo, s12, v32
	s_wait_alu 0xfffd
	v_add_co_ci_u32_e64 v33, null, s13, v33, vcc_lo
	v_add_co_u32 v34, vcc_lo, s12, v34
	v_lshlrev_b64_e32 v[60:61], 3, v[134:135]
	s_wait_alu 0xfffd
	v_add_co_ci_u32_e64 v35, null, s13, v35, vcc_lo
	v_add_co_u32 v36, vcc_lo, s12, v36
	s_wait_alu 0xfffd
	v_add_co_ci_u32_e64 v37, null, s13, v37, vcc_lo
	v_add_co_u32 v6, vcc_lo, s12, v6
	;; [unrolled: 3-line block ×3, first 2 shown]
	s_wait_alu 0xfffd
	v_add_co_ci_u32_e64 v61, null, s13, v61, vcc_lo
	s_clause 0x3
	global_load_b64 v[177:178], v[34:35], off
	global_load_b64 v[34:35], v[36:37], off
	;; [unrolled: 1-line block ×4, first 2 shown]
	s_wait_loadcnt 0x2
	v_add_f64_e64 v[60:61], v[177:178], -v[34:35]
	s_wait_loadcnt 0x0
	v_add_f64_e64 v[62:63], v[6:7], -v[36:37]
	s_delay_alu instid0(VALU_DEP_2) | instskip(NEXT) | instid1(VALU_DEP_1)
	v_mul_f64_e32 v[60:61], s[0:1], v[60:61]
	v_fma_f64 v[60:61], v[62:63], s[4:5], -v[60:61]
	scratch_load_b64 v[62:63], off, off offset:328 th:TH_LOAD_LU ; 8-byte Folded Reload
	s_clause 0x3
	global_load_b64 v[179:180], v[1:2], off
	global_load_b64 v[175:176], v[4:5], off
	global_load_b64 v[143:144], v[22:23], off
	global_load_b64 v[113:114], v[32:33], off
	scratch_load_b32 v4, off, off offset:72 th:TH_LOAD_LU ; 4-byte Folded Reload
	s_wait_loadcnt 0x3
	v_add_f64_e64 v[0:1], v[179:180], -v[175:176]
	v_mul_f64_e32 v[62:63], v[62:63], v[28:29]
	s_wait_loadcnt 0x1
	v_add_f64_e64 v[2:3], v[143:144], -v[113:114]
	s_wait_loadcnt 0x0
	v_mov_b32_e32 v27, v4
	s_delay_alu instid0(VALU_DEP_1) | instskip(NEXT) | instid1(VALU_DEP_1)
	v_add3_u32 v54, v54, v27, s6
	v_add_nc_u32_e32 v106, s6, v54
	s_delay_alu instid0(VALU_DEP_1) | instskip(SKIP_2) | instid1(VALU_DEP_2)
	v_ashrrev_i32_e32 v107, 31, v106
	v_mul_f64_e32 v[0:1], s[0:1], v[0:1]
	v_mul_f64_e32 v[60:61], v[62:63], v[60:61]
	v_fma_f64 v[0:1], v[2:3], s[4:5], -v[0:1]
	s_delay_alu instid0(VALU_DEP_2) | instskip(NEXT) | instid1(VALU_DEP_1)
	v_mul_f64_e32 v[2:3], v[138:139], v[60:61]
	v_mul_f64_e32 v[2:3], v[64:65], v[2:3]
	s_delay_alu instid0(VALU_DEP_1) | instskip(SKIP_4) | instid1(VALU_DEP_4)
	v_fma_f64 v[22:23], v[18:19], v[0:1], v[2:3]
	v_add3_u32 v3, v55, v4, s6
	v_add3_u32 v0, v108, v4, s6
	;; [unrolled: 1-line block ×3, first 2 shown]
	v_ashrrev_i32_e32 v55, 31, v54
	v_add_nc_u32_e32 v129, s6, v3
	s_delay_alu instid0(VALU_DEP_4)
	v_ashrrev_i32_e32 v1, 31, v0
	v_ashrrev_i32_e32 v4, 31, v3
	v_add_nc_u32_e32 v122, s6, v0
	v_ashrrev_i32_e32 v19, 31, v18
	v_ashrrev_i32_e32 v130, 31, v129
	v_lshlrev_b64_e32 v[1:2], 3, v[0:1]
	v_lshlrev_b64_e32 v[4:5], 3, v[3:4]
	v_ashrrev_i32_e32 v123, 31, v122
	v_lshlrev_b64_e32 v[31:32], 3, v[18:19]
	v_lshlrev_b64_e32 v[66:67], 3, v[129:130]
	v_add_nc_u32_e32 v130, s6, v18
	v_add_co_u32 v1, vcc_lo, s12, v1
	v_lshlrev_b64_e32 v[60:61], 3, v[54:55]
	s_wait_alu 0xfffd
	v_add_co_ci_u32_e64 v2, null, s13, v2, vcc_lo
	v_ashrrev_i32_e32 v131, 31, v130
	v_add_co_u32 v4, vcc_lo, s12, v4
	v_lshlrev_b64_e32 v[62:63], 3, v[122:123]
	s_wait_alu 0xfffd
	v_add_co_ci_u32_e64 v5, null, s13, v5, vcc_lo
	v_add_co_u32 v31, vcc_lo, s12, v31
	s_wait_alu 0xfffd
	v_add_co_ci_u32_e64 v32, null, s13, v32, vcc_lo
	v_add_co_u32 v60, vcc_lo, s12, v60
	v_lshlrev_b64_e32 v[18:19], 3, v[130:131]
	s_wait_alu 0xfffd
	v_add_co_ci_u32_e64 v61, null, s13, v61, vcc_lo
	v_add_co_u32 v62, vcc_lo, s12, v62
	v_lshlrev_b64_e32 v[54:55], 3, v[106:107]
	s_wait_alu 0xfffd
	v_add_co_ci_u32_e64 v63, null, s13, v63, vcc_lo
	v_add_co_u32 v66, vcc_lo, s12, v66
	s_wait_alu 0xfffd
	v_add_co_ci_u32_e64 v67, null, s13, v67, vcc_lo
	v_add_co_u32 v18, vcc_lo, s12, v18
	s_wait_alu 0xfffd
	v_add_co_ci_u32_e64 v19, null, s13, v19, vcc_lo
	v_add_co_u32 v54, vcc_lo, s12, v54
	s_wait_alu 0xfffd
	v_add_co_ci_u32_e64 v55, null, s13, v55, vcc_lo
	s_clause 0x3
	global_load_b64 v[62:63], v[62:63], off
	global_load_b64 v[66:67], v[66:67], off
	;; [unrolled: 1-line block ×4, first 2 shown]
	scratch_load_b64 v[56:57], off, off offset:176 th:TH_LOAD_LU ; 8-byte Folded Reload
	s_clause 0x3
	global_load_b64 v[0:1], v[1:2], off
	global_load_b64 v[2:3], v[4:5], off
	;; [unrolled: 1-line block ×4, first 2 shown]
	scratch_load_b32 v27, off, off offset:100 th:TH_LOAD_LU ; 4-byte Folded Reload
	s_wait_loadcnt 0x8
	v_add_f64_e64 v[88:89], v[62:63], -v[66:67]
	s_wait_loadcnt 0x7
	v_add_f64_e64 v[6:7], v[6:7], -v[18:19]
	;; [unrolled: 2-line block ×5, first 2 shown]
	v_add_f64_e64 v[33:34], v[34:35], -v[66:67]
	v_add_f64_e64 v[35:36], v[36:37], -v[54:55]
	;; [unrolled: 1-line block ×4, first 2 shown]
	v_mul_f64_e32 v[88:89], s[0:1], v[88:89]
	v_mul_f64_e32 v[4:5], s[0:1], v[4:5]
	s_delay_alu instid0(VALU_DEP_2) | instskip(SKIP_2) | instid1(VALU_DEP_4)
	v_fma_f64 v[88:89], v[100:101], s[4:5], -v[88:89]
	v_mul_f64_e32 v[100:101], v[56:57], v[42:43]
	v_add_f64_e64 v[56:57], v[157:158], -v[173:174]
	v_fma_f64 v[4:5], v[31:32], s[4:5], -v[4:5]
	s_delay_alu instid0(VALU_DEP_3) | instskip(NEXT) | instid1(VALU_DEP_3)
	v_mul_f64_e32 v[88:89], v[100:101], v[88:89]
	v_mul_f64_e32 v[18:19], s[0:1], v[56:57]
	s_delay_alu instid0(VALU_DEP_2) | instskip(NEXT) | instid1(VALU_DEP_2)
	v_mul_f64_e32 v[31:32], v[138:139], v[88:89]
	v_fma_f64 v[6:7], v[6:7], s[4:5], -v[18:19]
	s_delay_alu instid0(VALU_DEP_2) | instskip(NEXT) | instid1(VALU_DEP_1)
	v_mul_f64_e32 v[31:32], v[64:65], v[31:32]
	v_fma_f64 v[4:5], v[52:53], v[4:5], v[31:32]
	s_wait_loadcnt 0x0
	v_add_nc_u32_e32 v52, s7, v27
	s_delay_alu instid0(VALU_DEP_1) | instskip(NEXT) | instid1(VALU_DEP_1)
	v_ashrrev_i32_e32 v53, 31, v52
	v_lshlrev_b64_e32 v[31:32], 3, v[52:53]
	v_add_f64_e64 v[53:54], v[149:150], -v[165:166]
	s_delay_alu instid0(VALU_DEP_2) | instskip(SKIP_1) | instid1(VALU_DEP_3)
	v_add_co_u32 v31, vcc_lo, s18, v31
	s_wait_alu 0xfffd
	v_add_co_ci_u32_e64 v32, null, s19, v32, vcc_lo
	global_load_b64 v[31:32], v[31:32], off
	scratch_load_b64 v[60:61], off, off offset:124 th:TH_LOAD_LU ; 8-byte Folded Reload
	v_mul_f64_e32 v[53:54], s[0:1], v[53:54]
	s_wait_loadcnt 0x0
	v_mul_f64_e32 v[31:32], v[60:61], v[31:32]
	v_ashrrev_i32_e32 v60, 31, v59
	s_delay_alu instid0(VALU_DEP_1) | instskip(NEXT) | instid1(VALU_DEP_3)
	v_lshlrev_b64_e32 v[59:60], 3, v[59:60]
	v_mul_f64_e32 v[18:19], v[98:99], v[31:32]
	v_add_f64_e64 v[31:32], v[155:156], -v[171:172]
	s_delay_alu instid0(VALU_DEP_2) | instskip(SKIP_3) | instid1(VALU_DEP_2)
	v_mul_f64_e32 v[6:7], v[6:7], v[18:19]
	scratch_load_b32 v18, off, off offset:136 th:TH_LOAD_LU ; 4-byte Folded Reload
	v_mul_f64_e32 v[31:32], s[0:1], v[31:32]
	v_mul_f64_e32 v[6:7], v[140:141], v[6:7]
	v_fma_f64 v[31:32], v[33:34], s[4:5], -v[31:32]
	s_delay_alu instid0(VALU_DEP_2) | instskip(SKIP_2) | instid1(VALU_DEP_1)
	v_mul_f64_e32 v[6:7], v[64:65], v[6:7]
	s_wait_loadcnt 0x0
	v_add_nc_u32_e32 v104, s7, v18
	v_ashrrev_i32_e32 v105, 31, v104
	s_delay_alu instid0(VALU_DEP_1) | instskip(SKIP_1) | instid1(VALU_DEP_2)
	v_lshlrev_b64_e32 v[18:19], 3, v[104:105]
	v_add_nc_u32_e32 v105, s6, v106
	v_add_co_u32 v18, vcc_lo, s18, v18
	s_wait_alu 0xfffd
	s_delay_alu instid0(VALU_DEP_3)
	v_add_co_ci_u32_e64 v19, null, s19, v19, vcc_lo
	global_load_b64 v[18:19], v[18:19], off
	s_clause 0x1
	scratch_load_b64 v[56:57], off, off offset:92 th:TH_LOAD_LU
	scratch_load_b32 v27, off, off offset:104 th:TH_LOAD_LU
	v_ashrrev_i32_e32 v106, 31, v105
	s_delay_alu instid0(VALU_DEP_1) | instskip(SKIP_4) | instid1(VALU_DEP_1)
	v_lshlrev_b64_e32 v[105:106], 3, v[105:106]
	s_wait_loadcnt 0x1
	v_mul_f64_e32 v[18:19], v[56:57], v[18:19]
	s_wait_loadcnt 0x0
	v_add_nc_u32_e32 v102, s7, v27
	v_ashrrev_i32_e32 v103, 31, v102
	s_delay_alu instid0(VALU_DEP_1) | instskip(NEXT) | instid1(VALU_DEP_1)
	v_lshlrev_b64_e32 v[33:34], 3, v[102:103]
	v_add_co_u32 v33, vcc_lo, s18, v33
	s_wait_alu 0xfffd
	s_delay_alu instid0(VALU_DEP_2)
	v_add_co_ci_u32_e64 v34, null, s19, v34, vcc_lo
	global_load_b64 v[33:34], v[33:34], off
	s_clause 0x1
	scratch_load_b64 v[56:57], off, off offset:84 th:TH_LOAD_LU
	scratch_load_b32 v27, off, off offset:164 th:TH_LOAD_LU
	v_mul_f64_e32 v[18:19], v[111:112], v[18:19]
	s_delay_alu instid0(VALU_DEP_1) | instskip(SKIP_1) | instid1(VALU_DEP_1)
	v_mul_f64_e32 v[18:19], v[31:32], v[18:19]
	v_add_f64_e64 v[31:32], v[153:154], -v[169:170]
	v_mul_f64_e32 v[31:32], s[0:1], v[31:32]
	s_delay_alu instid0(VALU_DEP_1)
	v_fma_f64 v[31:32], v[35:36], s[4:5], -v[31:32]
	s_wait_loadcnt 0x1
	v_mul_f64_e32 v[33:34], v[56:57], v[33:34]
	v_add_nc_u32_e32 v57, s6, v132
	s_wait_loadcnt 0x0
	v_add_nc_u32_e32 v100, s7, v27
	s_delay_alu instid0(VALU_DEP_2) | instskip(NEXT) | instid1(VALU_DEP_2)
	v_ashrrev_i32_e32 v58, 31, v57
	v_ashrrev_i32_e32 v101, 31, v100
	v_add_nc_u32_e32 v103, s6, v100
	s_delay_alu instid0(VALU_DEP_3) | instskip(SKIP_1) | instid1(VALU_DEP_1)
	v_lshlrev_b64_e32 v[57:58], 3, v[57:58]
	v_mul_f64_e32 v[33:34], v[46:47], v[33:34]
	v_mul_f64_e32 v[31:32], v[31:32], v[33:34]
	scratch_load_b128 v[33:36], off, off offset:108 th:TH_LOAD_LU ; 16-byte Folded Reload
	s_wait_loadcnt 0x0
	v_mul_f64_e32 v[153:154], v[35:36], v[31:32]
	v_lshlrev_b64_e32 v[31:32], 3, v[100:101]
	v_add_f64_e64 v[35:36], v[151:152], -v[167:168]
	v_mul_f64_e32 v[18:19], v[33:34], v[18:19]
	v_add_nc_u32_e32 v101, s6, v130
	s_delay_alu instid0(VALU_DEP_4)
	v_add_co_u32 v31, vcc_lo, s18, v31
	s_wait_alu 0xfffd
	v_add_co_ci_u32_e64 v32, null, s19, v32, vcc_lo
	global_load_b64 v[31:32], v[31:32], off
	scratch_load_b64 v[55:56], off, off offset:156 th:TH_LOAD_LU ; 8-byte Folded Reload
	v_add_co_u32 v33, vcc_lo, s18, v116
	s_wait_alu 0xfffd
	v_add_co_ci_u32_e64 v34, null, s19, v117, vcc_lo
	global_load_b64 v[33:34], v[33:34], off
	v_mul_f64_e32 v[35:36], s[0:1], v[35:36]
	v_mul_f64_e32 v[18:19], v[64:65], v[18:19]
	s_delay_alu instid0(VALU_DEP_2)
	v_fma_f64 v[0:1], v[0:1], s[4:5], -v[35:36]
	scratch_load_b64 v[35:36], off, off offset:168 th:TH_LOAD_LU ; 8-byte Folded Reload
	s_wait_loadcnt 0x2
	v_mul_f64_e32 v[31:32], v[55:56], v[31:32]
	v_add_f64_e64 v[55:56], v[177:178], -v[62:63]
	s_wait_loadcnt 0x1
	v_mul_f64_e32 v[33:34], v[188:189], v[33:34]
	s_delay_alu instid0(VALU_DEP_3) | instskip(NEXT) | instid1(VALU_DEP_3)
	v_mul_f64_e32 v[31:32], v[44:45], v[31:32]
	v_fma_f64 v[53:54], v[55:56], s[4:5], -v[53:54]
	v_add_nc_u32_e32 v55, s6, v128
	s_delay_alu instid0(VALU_DEP_1) | instskip(SKIP_1) | instid1(VALU_DEP_2)
	v_ashrrev_i32_e32 v56, 31, v55
	v_mul_f64_e32 v[33:34], v[44:45], v[33:34]
	v_lshlrev_b64_e32 v[55:56], 3, v[55:56]
	v_mul_f64_e32 v[31:32], v[53:54], v[31:32]
	s_wait_loadcnt 0x0
	s_delay_alu instid0(VALU_DEP_1) | instskip(NEXT) | instid1(VALU_DEP_1)
	v_mul_f64_e32 v[31:32], v[35:36], v[31:32]
	v_mul_f64_e32 v[31:32], v[64:65], v[31:32]
	s_delay_alu instid0(VALU_DEP_1) | instskip(SKIP_2) | instid1(VALU_DEP_1)
	v_fma_f64 v[0:1], v[0:1], v[33:34], v[31:32]
	scratch_load_b64 v[33:34], off, off offset:76 th:TH_LOAD_LU ; 8-byte Folded Reload
	v_add_f64_e64 v[31:32], v[147:148], -v[163:164]
	v_mul_f64_e32 v[31:32], s[0:1], v[31:32]
	s_delay_alu instid0(VALU_DEP_1)
	v_fma_f64 v[2:3], v[2:3], s[4:5], -v[31:32]
	s_wait_loadcnt 0x0
	v_add_co_u32 v33, vcc_lo, s18, v33
	s_wait_alu 0xfffd
	v_add_co_ci_u32_e64 v34, null, s19, v34, vcc_lo
	global_load_b64 v[31:32], v[33:34], off
	v_add_f64_e64 v[33:34], v[143:144], -v[159:160]
	s_wait_loadcnt 0x0
	v_mul_f64_e32 v[31:32], v[70:71], v[31:32]
	s_delay_alu instid0(VALU_DEP_1) | instskip(NEXT) | instid1(VALU_DEP_1)
	v_mul_f64_e32 v[31:32], v[111:112], v[31:32]
	v_fma_f64 v[2:3], v[2:3], v[31:32], v[18:19]
	scratch_load_b64 v[31:32], off, off offset:304 th:TH_LOAD_LU ; 8-byte Folded Reload
	v_add_f64_e64 v[18:19], v[145:146], -v[161:162]
	s_delay_alu instid0(VALU_DEP_1) | instskip(NEXT) | instid1(VALU_DEP_1)
	v_mul_f64_e32 v[18:19], s[0:1], v[18:19]
	v_fma_f64 v[18:19], v[33:34], s[4:5], -v[18:19]
	v_add_f64_e64 v[33:34], v[113:114], -v[120:121]
	s_wait_loadcnt 0x0
	v_add_co_u32 v31, vcc_lo, s18, v31
	s_wait_alu 0xfffd
	v_add_co_ci_u32_e64 v32, null, s19, v32, vcc_lo
	global_load_b64 v[31:32], v[31:32], off
	s_wait_loadcnt 0x0
	v_mul_f64_e32 v[31:32], v[109:110], v[31:32]
	s_delay_alu instid0(VALU_DEP_1) | instskip(NEXT) | instid1(VALU_DEP_1)
	v_mul_f64_e32 v[31:32], v[98:99], v[31:32]
	v_fma_f64 v[6:7], v[18:19], v[31:32], v[6:7]
	scratch_load_b64 v[31:32], off, off offset:148 th:TH_LOAD_LU ; 8-byte Folded Reload
	v_add_f64_e64 v[18:19], v[118:119], -v[68:69]
	s_delay_alu instid0(VALU_DEP_1) | instskip(NEXT) | instid1(VALU_DEP_1)
	v_mul_f64_e32 v[18:19], s[0:1], v[18:19]
	v_fma_f64 v[18:19], v[33:34], s[4:5], -v[18:19]
	v_mul_f64_e32 v[33:34], v[64:65], v[153:154]
	s_wait_loadcnt 0x0
	v_add_co_u32 v31, vcc_lo, s18, v31
	s_wait_alu 0xfffd
	v_add_co_ci_u32_e64 v32, null, s19, v32, vcc_lo
	global_load_b64 v[31:32], v[31:32], off
	scratch_load_b64 v[68:69], off, off offset:140 th:TH_LOAD_LU ; 8-byte Folded Reload
	s_wait_loadcnt 0x0
	v_mul_f64_e32 v[31:32], v[68:69], v[31:32]
	s_delay_alu instid0(VALU_DEP_1) | instskip(NEXT) | instid1(VALU_DEP_1)
	v_mul_f64_e32 v[31:32], v[46:47], v[31:32]
	v_fma_f64 v[86:87], v[18:19], v[31:32], v[33:34]
	v_mul_f64_e32 v[18:19], v[40:41], v[96:97]
	v_add_nc_u32_e32 v31, s6, v104
	v_ashrrev_i32_e32 v104, 31, v103
	s_delay_alu instid0(VALU_DEP_2) | instskip(NEXT) | instid1(VALU_DEP_2)
	v_ashrrev_i32_e32 v32, 31, v31
	v_lshlrev_b64_e32 v[103:104], 3, v[103:104]
	s_delay_alu instid0(VALU_DEP_2) | instskip(NEXT) | instid1(VALU_DEP_1)
	v_lshlrev_b64_e32 v[31:32], 3, v[31:32]
	v_add_co_u32 v33, vcc_lo, s18, v31
	v_add_nc_u32_e32 v31, s6, v102
	s_wait_alu 0xfffd
	s_delay_alu instid0(VALU_DEP_3) | instskip(SKIP_1) | instid1(VALU_DEP_3)
	v_add_co_ci_u32_e64 v34, null, s19, v32, vcc_lo
	v_ashrrev_i32_e32 v102, 31, v101
	v_ashrrev_i32_e32 v32, 31, v31
	s_delay_alu instid0(VALU_DEP_2) | instskip(NEXT) | instid1(VALU_DEP_2)
	v_lshlrev_b64_e32 v[101:102], 3, v[101:102]
	v_lshlrev_b64_e32 v[31:32], 3, v[31:32]
	s_delay_alu instid0(VALU_DEP_1) | instskip(SKIP_1) | instid1(VALU_DEP_2)
	v_add_co_u32 v35, vcc_lo, s18, v31
	s_wait_alu 0xfffd
	v_add_co_ci_u32_e64 v36, null, s19, v32, vcc_lo
	v_mul_f64_e32 v[88:89], v[18:19], v[12:13]
	v_add_nc_u32_e32 v12, s6, v24
	v_add_nc_u32_e32 v18, s6, v25
	;; [unrolled: 1-line block ×4, first 2 shown]
	scratch_load_b64 v[30:31], off, off offset:296 th:TH_LOAD_LU ; 8-byte Folded Reload
	v_ashrrev_i32_e32 v13, 31, v12
	v_ashrrev_i32_e32 v19, 31, v18
	;; [unrolled: 1-line block ×4, first 2 shown]
	s_delay_alu instid0(VALU_DEP_4) | instskip(NEXT) | instid1(VALU_DEP_4)
	v_lshlrev_b64_e32 v[12:13], 3, v[12:13]
	v_lshlrev_b64_e32 v[18:19], 3, v[18:19]
	s_delay_alu instid0(VALU_DEP_4) | instskip(NEXT) | instid1(VALU_DEP_4)
	v_lshlrev_b64_e32 v[24:25], 3, v[24:25]
	v_lshlrev_b64_e32 v[26:27], 3, v[26:27]
	s_delay_alu instid0(VALU_DEP_4)
	v_add_co_u32 v12, vcc_lo, s12, v12
	s_wait_alu 0xfffd
	v_add_co_ci_u32_e64 v13, null, s13, v13, vcc_lo
	v_add_co_u32 v18, vcc_lo, s12, v18
	s_wait_alu 0xfffd
	v_add_co_ci_u32_e64 v19, null, s13, v19, vcc_lo
	;; [unrolled: 3-line block ×4, first 2 shown]
	s_clause 0x3
	global_load_b64 v[12:13], v[12:13], off
	global_load_b64 v[18:19], v[18:19], off
	;; [unrolled: 1-line block ×4, first 2 shown]
	scratch_load_b64 v[61:62], off, off offset:288 th:TH_LOAD_LU ; 8-byte Folded Reload
	s_wait_loadcnt 0x5
	v_mul_f64_e32 v[30:31], v[90:91], v[30:31]
	s_wait_loadcnt 0x3
	v_add_f64_e64 v[24:25], v[12:13], -v[18:19]
	s_wait_loadcnt 0x1
	v_add_f64_e64 v[26:27], v[40:41], -v[53:54]
	s_wait_loadcnt 0x0
	v_mul_f64_e32 v[61:62], v[38:39], v[61:62]
	s_delay_alu instid0(VALU_DEP_3) | instskip(NEXT) | instid1(VALU_DEP_1)
	v_mul_f64_e32 v[24:25], s[0:1], v[24:25]
	v_fma_f64 v[24:25], v[26:27], s[4:5], -v[24:25]
	v_mul_f64_e32 v[26:27], v[30:31], v[76:77]
	v_add_nc_u32_e32 v30, s6, v124
	s_delay_alu instid0(VALU_DEP_1) | instskip(NEXT) | instid1(VALU_DEP_1)
	v_ashrrev_i32_e32 v31, 31, v30
	v_lshlrev_b64_e32 v[30:31], 3, v[30:31]
	s_delay_alu instid0(VALU_DEP_1) | instskip(SKIP_1) | instid1(VALU_DEP_2)
	v_add_co_u32 v30, vcc_lo, s12, v30
	s_wait_alu 0xfffd
	v_add_co_ci_u32_e64 v31, null, s13, v31, vcc_lo
	v_add_co_u32 v55, vcc_lo, s12, v55
	s_wait_alu 0xfffd
	v_add_co_ci_u32_e64 v56, null, s13, v56, vcc_lo
	;; [unrolled: 3-line block ×4, first 2 shown]
	s_clause 0x3
	global_load_b64 v[66:67], v[30:31], off
	global_load_b64 v[76:77], v[55:56], off
	;; [unrolled: 1-line block ×4, first 2 shown]
	v_mul_f64_e32 v[58:59], v[61:62], v[28:29]
	v_add_nc_u32_e32 v28, s6, v125
	v_add_nc_u32_e32 v60, s6, v133
	;; [unrolled: 1-line block ×3, first 2 shown]
	scratch_load_b64 v[37:38], off, off offset:264 th:TH_LOAD_LU ; 8-byte Folded Reload
	v_mul_f64_e32 v[24:25], v[88:89], v[24:25]
	v_ashrrev_i32_e32 v29, 31, v28
	v_ashrrev_i32_e32 v61, 31, v60
	;; [unrolled: 1-line block ×3, first 2 shown]
	s_delay_alu instid0(VALU_DEP_3) | instskip(NEXT) | instid1(VALU_DEP_3)
	v_lshlrev_b64_e32 v[28:29], 3, v[28:29]
	v_lshlrev_b64_e32 v[60:61], 3, v[60:61]
	s_delay_alu instid0(VALU_DEP_3) | instskip(NEXT) | instid1(VALU_DEP_3)
	v_lshlrev_b64_e32 v[62:63], 3, v[62:63]
	v_add_co_u32 v28, vcc_lo, s12, v28
	s_wait_alu 0xfffd
	s_delay_alu instid0(VALU_DEP_4)
	v_add_co_ci_u32_e64 v29, null, s13, v29, vcc_lo
	v_fma_f64 v[24:25], v[64:65], v[24:25], v[181:182]
	s_wait_loadcnt 0x4
	v_add_f64_e64 v[12:13], v[12:13], -v[66:67]
	s_wait_loadcnt 0x3
	v_add_f64_e64 v[30:31], v[66:67], -v[76:77]
	v_add_f64_e64 v[18:19], v[18:19], -v[76:77]
	s_wait_loadcnt 0x1
	v_add_f64_e64 v[55:56], v[90:91], -v[92:93]
	s_wait_loadcnt 0x0
	v_mul_f64_e32 v[84:85], v[82:83], v[37:38]
	v_mul_f64_e32 v[12:13], s[0:1], v[12:13]
	;; [unrolled: 1-line block ×4, first 2 shown]
	s_delay_alu instid0(VALU_DEP_4) | instskip(SKIP_1) | instid1(VALU_DEP_1)
	v_mul_f64_e32 v[42:43], v[84:85], v[42:43]
	v_add_nc_u32_e32 v84, s6, v129
	v_ashrrev_i32_e32 v85, 31, v84
	s_delay_alu instid0(VALU_DEP_1) | instskip(SKIP_2) | instid1(VALU_DEP_1)
	v_lshlrev_b64_e32 v[84:85], 3, v[84:85]
	v_fma_f64 v[30:31], v[55:56], s[4:5], -v[30:31]
	v_add_nc_u32_e32 v55, s6, v126
	v_ashrrev_i32_e32 v56, 31, v55
	s_delay_alu instid0(VALU_DEP_1) | instskip(NEXT) | instid1(VALU_DEP_1)
	v_lshlrev_b64_e32 v[55:56], 3, v[55:56]
	v_add_co_u32 v55, vcc_lo, s12, v55
	s_wait_alu 0xfffd
	s_delay_alu instid0(VALU_DEP_2)
	v_add_co_ci_u32_e64 v56, null, s13, v56, vcc_lo
	v_add_co_u32 v60, vcc_lo, s12, v60
	s_wait_alu 0xfffd
	v_add_co_ci_u32_e64 v61, null, s13, v61, vcc_lo
	v_add_co_u32 v62, vcc_lo, s12, v62
	s_wait_alu 0xfffd
	v_add_co_ci_u32_e64 v63, null, s13, v63, vcc_lo
	s_clause 0x3
	global_load_b64 v[28:29], v[28:29], off
	global_load_b64 v[94:95], v[55:56], off
	;; [unrolled: 1-line block ×4, first 2 shown]
	v_mul_f64_e32 v[26:27], v[26:27], v[30:31]
	s_delay_alu instid0(VALU_DEP_1) | instskip(NEXT) | instid1(VALU_DEP_1)
	v_fma_f64 v[16:17], v[64:65], v[26:27], v[16:17]
	v_add_f64_e64 v[10:11], v[24:25], -v[16:17]
	s_delay_alu instid0(VALU_DEP_1) | instskip(SKIP_4) | instid1(VALU_DEP_2)
	v_mul_f64_e32 v[10:11], s[0:1], v[10:11]
	s_wait_loadcnt 0x2
	v_add_f64_e64 v[55:56], v[28:29], -v[94:95]
	s_wait_loadcnt 0x0
	v_add_f64_e64 v[62:63], v[96:97], -v[60:61]
	v_mul_f64_e32 v[55:56], s[0:1], v[55:56]
	s_delay_alu instid0(VALU_DEP_1) | instskip(SKIP_1) | instid1(VALU_DEP_1)
	v_fma_f64 v[56:57], v[62:63], s[4:5], -v[55:56]
	v_add_nc_u32_e32 v62, s6, v122
	v_ashrrev_i32_e32 v63, 31, v62
	s_delay_alu instid0(VALU_DEP_1) | instskip(NEXT) | instid1(VALU_DEP_1)
	v_lshlrev_b64_e32 v[62:63], 3, v[62:63]
	v_add_co_u32 v62, vcc_lo, s12, v62
	s_wait_alu 0xfffd
	s_delay_alu instid0(VALU_DEP_2)
	v_add_co_ci_u32_e64 v63, null, s13, v63, vcc_lo
	v_add_co_u32 v84, vcc_lo, s12, v84
	s_wait_alu 0xfffd
	v_add_co_ci_u32_e64 v85, null, s13, v85, vcc_lo
	v_add_co_u32 v101, vcc_lo, s12, v101
	s_wait_alu 0xfffd
	;; [unrolled: 3-line block ×4, first 2 shown]
	v_add_co_ci_u32_e64 v106, null, s13, v106, vcc_lo
	global_load_b64 v[103:104], v[103:104], off
	s_clause 0x3
	global_load_b64 v[62:63], v[62:63], off
	global_load_b64 v[107:108], v[84:85], off
	;; [unrolled: 1-line block ×5, first 2 shown]
	v_mul_f64_e32 v[30:31], v[58:59], v[56:57]
	global_load_b64 v[34:35], v[35:36], off
	v_fma_f64 v[22:23], v[64:65], v[30:31], v[22:23]
	s_wait_loadcnt 0x5
	v_add_f64_e64 v[28:29], v[28:29], -v[62:63]
	s_wait_loadcnt 0x4
	v_add_f64_e64 v[82:83], v[62:63], -v[107:108]
	v_add_nc_u32_e32 v62, s6, v52
	s_wait_loadcnt 0x2
	v_add_f64_e64 v[36:37], v[60:61], -v[84:85]
	s_wait_loadcnt 0x1
	v_mul_f64_e32 v[32:33], v[70:71], v[32:33]
	v_mul_f64_e32 v[103:104], v[188:189], v[103:104]
	v_add_f64_e64 v[105:106], v[100:101], -v[84:85]
	v_ashrrev_i32_e32 v63, 31, v62
	s_wait_loadcnt 0x0
	v_mul_f64_e32 v[34:35], v[68:69], v[34:35]
	s_delay_alu instid0(VALU_DEP_2) | instskip(NEXT) | instid1(VALU_DEP_1)
	v_lshlrev_b64_e32 v[62:63], 3, v[62:63]
	v_add_co_u32 v62, vcc_lo, s18, v62
	s_wait_alu 0xfffd
	s_delay_alu instid0(VALU_DEP_2)
	v_add_co_ci_u32_e64 v63, null, s19, v63, vcc_lo
	v_fma_f64 v[12:13], v[28:29], s[4:5], -v[12:13]
	v_mul_f64_e32 v[82:83], s[0:1], v[82:83]
	v_mul_f64_e32 v[28:29], v[111:112], v[32:33]
	v_add_f64_e64 v[32:33], v[94:95], -v[107:108]
	v_mul_f64_e32 v[80:81], v[44:45], v[103:104]
	v_mul_f64_e32 v[34:35], v[46:47], v[34:35]
	v_fma_f64 v[82:83], v[105:106], s[4:5], -v[82:83]
	s_delay_alu instid0(VALU_DEP_4)
	v_fma_f64 v[18:19], v[32:33], s[4:5], -v[18:19]
	v_add_f64_e64 v[32:33], v[40:41], -v[90:91]
	v_add_f64_e64 v[40:41], v[53:54], -v[92:93]
	global_load_b64 v[52:53], v[62:63], off
	v_add_f64_e64 v[54:55], v[96:97], -v[100:101]
	v_mul_f64_e32 v[12:13], v[12:13], v[80:81]
	v_mul_f64_e32 v[18:19], v[18:19], v[28:29]
	;; [unrolled: 1-line block ×4, first 2 shown]
	s_delay_alu instid0(VALU_DEP_4) | instskip(NEXT) | instid1(VALU_DEP_4)
	v_fma_f64 v[0:1], v[64:65], v[12:13], v[0:1]
	v_fma_f64 v[2:3], v[64:65], v[18:19], v[2:3]
	s_delay_alu instid0(VALU_DEP_4) | instskip(NEXT) | instid1(VALU_DEP_4)
	v_fma_f64 v[32:33], v[54:55], s[4:5], -v[32:33]
	v_fma_f64 v[36:37], v[36:37], s[4:5], -v[40:41]
	v_mul_f64_e32 v[40:41], v[42:43], v[82:83]
	s_delay_alu instid0(VALU_DEP_4) | instskip(NEXT) | instid1(VALU_DEP_2)
	v_add_f64_e64 v[0:1], v[0:1], -v[2:3]
	v_fma_f64 v[4:5], v[64:65], v[40:41], v[4:5]
	s_delay_alu instid0(VALU_DEP_2) | instskip(NEXT) | instid1(VALU_DEP_2)
	v_mul_f64_e32 v[0:1], s[0:1], v[0:1]
	v_add_f64_e64 v[4:5], v[22:23], -v[4:5]
	s_delay_alu instid0(VALU_DEP_1) | instskip(SKIP_2) | instid1(VALU_DEP_1)
	v_fma_f64 v[4:5], v[4:5], s[4:5], -v[10:11]
	s_wait_loadcnt 0x0
	v_mul_f64_e32 v[52:53], v[109:110], v[52:53]
	v_mul_f64_e32 v[52:53], v[98:99], v[52:53]
	s_delay_alu instid0(VALU_DEP_1)
	v_mul_f64_e32 v[28:29], v[32:33], v[52:53]
	v_mul_f64_e32 v[32:33], v[36:37], v[34:35]
	s_clause 0x3
	scratch_load_b64 v[34:35], off, off offset:40 th:TH_LOAD_LU
	scratch_load_b64 v[36:37], off, off offset:56 th:TH_LOAD_LU
	;; [unrolled: 1-line block ×4, first 2 shown]
	v_fma_f64 v[6:7], v[64:65], v[28:29], v[6:7]
	v_fma_f64 v[12:13], v[64:65], v[32:33], v[86:87]
	v_add_f64_e64 v[28:29], v[78:79], -v[72:73]
	s_delay_alu instid0(VALU_DEP_2) | instskip(NEXT) | instid1(VALU_DEP_1)
	v_add_f64_e64 v[2:3], v[6:7], -v[12:13]
	v_fma_f64 v[0:1], v[2:3], s[4:5], -v[0:1]
	scratch_load_b64 v[2:3], off, off offset:16 th:TH_LOAD_LU ; 8-byte Folded Reload
	s_wait_loadcnt 0x3
	v_fma_f64 v[34:35], v[64:65], v[36:37], v[34:35]
	s_wait_loadcnt 0x2
	v_mul_f64_e32 v[18:19], s[0:1], v[18:19]
	s_wait_loadcnt 0x1
	s_delay_alu instid0(VALU_DEP_1) | instskip(SKIP_1) | instid1(VALU_DEP_2)
	v_fma_f64 v[18:19], v[26:27], s[4:5], -v[18:19]
	v_mul_f64_e32 v[26:27], s[0:1], v[74:75]
	v_add_f64_e32 v[18:19], v[34:35], v[18:19]
	s_delay_alu instid0(VALU_DEP_2) | instskip(SKIP_2) | instid1(VALU_DEP_2)
	v_fma_f64 v[26:27], v[186:187], s[4:5], -v[26:27]
	s_wait_loadcnt 0x0
	v_add_co_u32 v2, vcc_lo, s2, v2
	v_add_f64_e32 v[18:19], v[26:27], v[18:19]
	v_mul_f64_e32 v[26:27], s[0:1], v[28:29]
	s_wait_alu 0xfffd
	v_add_co_ci_u32_e64 v3, null, s3, v3, vcc_lo
	s_delay_alu instid0(VALU_DEP_2) | instskip(NEXT) | instid1(VALU_DEP_1)
	v_fma_f64 v[20:21], v[20:21], s[4:5], -v[26:27]
	v_add_f64_e32 v[14:15], v[18:19], v[20:21]
	s_delay_alu instid0(VALU_DEP_1) | instskip(NEXT) | instid1(VALU_DEP_1)
	v_add_f64_e32 v[8:9], v[14:15], v[8:9]
	v_add_f64_e32 v[4:5], v[8:9], v[4:5]
	s_delay_alu instid0(VALU_DEP_1)
	v_add_f64_e32 v[0:1], v[4:5], v[0:1]
	global_load_b64 v[4:5], v[2:3], off
	s_clause 0x1
	scratch_load_b64 v[6:7], off, off offset:24 th:TH_LOAD_LU
	scratch_load_b64 v[8:9], off, off offset:32 th:TH_LOAD_LU
	v_mul_f64_e32 v[0:1], s[10:11], v[0:1]
	s_wait_loadcnt 0x0
	v_div_fixup_f64 v[6:7], v[8:9], v[6:7], v[50:51]
	s_delay_alu instid0(VALU_DEP_1) | instskip(NEXT) | instid1(VALU_DEP_1)
	v_mul_f64_e32 v[0:1], v[6:7], v[0:1]
	v_fma_f64 v[0:1], s[8:9], v[4:5], v[0:1]
	global_store_b64 v[2:3], v[0:1], off
.LBB2_2:
	s_nop 0
	s_sendmsg sendmsg(MSG_DEALLOC_VGPRS)
	s_endpgm
	.section	.rodata,"a",@progbits
	.p2align	6, 0x0
	.amdhsa_kernel _Z7kernel3iiiiiiiiiiiiddPKdS0_S0_S0_S0_PdS0_S0_S0_S0_S0_S0_S0_
		.amdhsa_group_segment_fixed_size 0
		.amdhsa_private_segment_fixed_size 396
		.amdhsa_kernarg_size 424
		.amdhsa_user_sgpr_count 2
		.amdhsa_user_sgpr_dispatch_ptr 0
		.amdhsa_user_sgpr_queue_ptr 0
		.amdhsa_user_sgpr_kernarg_segment_ptr 1
		.amdhsa_user_sgpr_dispatch_id 0
		.amdhsa_user_sgpr_private_segment_size 0
		.amdhsa_wavefront_size32 1
		.amdhsa_uses_dynamic_stack 0
		.amdhsa_enable_private_segment 1
		.amdhsa_system_sgpr_workgroup_id_x 1
		.amdhsa_system_sgpr_workgroup_id_y 1
		.amdhsa_system_sgpr_workgroup_id_z 1
		.amdhsa_system_sgpr_workgroup_info 0
		.amdhsa_system_vgpr_workitem_id 2
		.amdhsa_next_free_vgpr 192
		.amdhsa_next_free_sgpr 28
		.amdhsa_reserve_vcc 1
		.amdhsa_float_round_mode_32 0
		.amdhsa_float_round_mode_16_64 0
		.amdhsa_float_denorm_mode_32 3
		.amdhsa_float_denorm_mode_16_64 3
		.amdhsa_fp16_overflow 0
		.amdhsa_workgroup_processor_mode 1
		.amdhsa_memory_ordered 1
		.amdhsa_forward_progress 1
		.amdhsa_inst_pref_size 113
		.amdhsa_round_robin_scheduling 0
		.amdhsa_exception_fp_ieee_invalid_op 0
		.amdhsa_exception_fp_denorm_src 0
		.amdhsa_exception_fp_ieee_div_zero 0
		.amdhsa_exception_fp_ieee_overflow 0
		.amdhsa_exception_fp_ieee_underflow 0
		.amdhsa_exception_fp_ieee_inexact 0
		.amdhsa_exception_int_div_zero 0
	.end_amdhsa_kernel
	.text
.Lfunc_end2:
	.size	_Z7kernel3iiiiiiiiiiiiddPKdS0_S0_S0_S0_PdS0_S0_S0_S0_S0_S0_S0_, .Lfunc_end2-_Z7kernel3iiiiiiiiiiiiddPKdS0_S0_S0_S0_PdS0_S0_S0_S0_S0_S0_S0_
                                        ; -- End function
	.set _Z7kernel3iiiiiiiiiiiiddPKdS0_S0_S0_S0_PdS0_S0_S0_S0_S0_S0_S0_.num_vgpr, 192
	.set _Z7kernel3iiiiiiiiiiiiddPKdS0_S0_S0_S0_PdS0_S0_S0_S0_S0_S0_S0_.num_agpr, 0
	.set _Z7kernel3iiiiiiiiiiiiddPKdS0_S0_S0_S0_PdS0_S0_S0_S0_S0_S0_S0_.numbered_sgpr, 28
	.set _Z7kernel3iiiiiiiiiiiiddPKdS0_S0_S0_S0_PdS0_S0_S0_S0_S0_S0_S0_.num_named_barrier, 0
	.set _Z7kernel3iiiiiiiiiiiiddPKdS0_S0_S0_S0_PdS0_S0_S0_S0_S0_S0_S0_.private_seg_size, 396
	.set _Z7kernel3iiiiiiiiiiiiddPKdS0_S0_S0_S0_PdS0_S0_S0_S0_S0_S0_S0_.uses_vcc, 1
	.set _Z7kernel3iiiiiiiiiiiiddPKdS0_S0_S0_S0_PdS0_S0_S0_S0_S0_S0_S0_.uses_flat_scratch, 1
	.set _Z7kernel3iiiiiiiiiiiiddPKdS0_S0_S0_S0_PdS0_S0_S0_S0_S0_S0_S0_.has_dyn_sized_stack, 0
	.set _Z7kernel3iiiiiiiiiiiiddPKdS0_S0_S0_S0_PdS0_S0_S0_S0_S0_S0_S0_.has_recursion, 0
	.set _Z7kernel3iiiiiiiiiiiiddPKdS0_S0_S0_S0_PdS0_S0_S0_S0_S0_S0_S0_.has_indirect_call, 0
	.section	.AMDGPU.csdata,"",@progbits
; Kernel info:
; codeLenInByte = 14352
; TotalNumSgprs: 30
; NumVgprs: 192
; ScratchSize: 396
; MemoryBound: 0
; FloatMode: 240
; IeeeMode: 1
; LDSByteSize: 0 bytes/workgroup (compile time only)
; SGPRBlocks: 0
; VGPRBlocks: 23
; NumSGPRsForWavesPerEU: 30
; NumVGPRsForWavesPerEU: 192
; Occupancy: 8
; WaveLimiterHint : 0
; COMPUTE_PGM_RSRC2:SCRATCH_EN: 1
; COMPUTE_PGM_RSRC2:USER_SGPR: 2
; COMPUTE_PGM_RSRC2:TRAP_HANDLER: 0
; COMPUTE_PGM_RSRC2:TGID_X_EN: 1
; COMPUTE_PGM_RSRC2:TGID_Y_EN: 1
; COMPUTE_PGM_RSRC2:TGID_Z_EN: 1
; COMPUTE_PGM_RSRC2:TIDIG_COMP_CNT: 2
	.text
	.protected	_Z7kernel4iiiiiiiiiiiiddPKdS0_S0_S0_S0_PdS0_S0_S0_S0_S0_S0_S0_ ; -- Begin function _Z7kernel4iiiiiiiiiiiiddPKdS0_S0_S0_S0_PdS0_S0_S0_S0_S0_S0_S0_
	.globl	_Z7kernel4iiiiiiiiiiiiddPKdS0_S0_S0_S0_PdS0_S0_S0_S0_S0_S0_S0_
	.p2align	8
	.type	_Z7kernel4iiiiiiiiiiiiddPKdS0_S0_S0_S0_PdS0_S0_S0_S0_S0_S0_S0_,@function
_Z7kernel4iiiiiiiiiiiiddPKdS0_S0_S0_S0_PdS0_S0_S0_S0_S0_S0_S0_: ; @_Z7kernel4iiiiiiiiiiiiddPKdS0_S0_S0_S0_PdS0_S0_S0_S0_S0_S0_S0_
; %bb.0:
	s_clause 0x1
	s_load_b64 s[2:3], s[0:1], 0xb4
	s_load_b256 s[12:19], s[0:1], 0x0
	v_and_b32_e32 v1, 0x3ff, v0
	v_bfe_u32 v2, v0, 10, 10
	s_and_b32 s4, ttmp7, 0xffff
	v_bfe_u32 v0, v0, 20, 10
	s_lshr_b32 s5, ttmp7, 16
	s_wait_kmcnt 0x0
	s_and_b32 s6, s2, 0xffff
	s_lshr_b32 s2, s2, 16
	s_and_b32 s3, s3, 0xffff
	s_mul_i32 s6, ttmp9, s6
	s_mul_i32 s4, s4, s2
	s_mul_i32 s5, s5, s3
	v_add3_u32 v20, s6, s12, v1
	v_add3_u32 v22, s4, s14, v2
	;; [unrolled: 1-line block ×3, first 2 shown]
	s_delay_alu instid0(VALU_DEP_3) | instskip(NEXT) | instid1(VALU_DEP_3)
	v_cmp_gt_i32_e32 vcc_lo, s13, v20
	v_cmp_gt_i32_e64 s2, s15, v22
	s_delay_alu instid0(VALU_DEP_3) | instskip(SKIP_1) | instid1(SALU_CYCLE_1)
	v_cmp_gt_i32_e64 s3, s17, v50
	s_and_b32 s2, vcc_lo, s2
	s_and_b32 s2, s2, s3
	s_delay_alu instid0(SALU_CYCLE_1)
	s_and_saveexec_b32 s3, s2
	s_cbranch_execz .LBB3_2
; %bb.1:
	s_clause 0x3
	s_load_b128 s[24:27], s[0:1], 0x98
	s_load_b128 s[20:23], s[0:1], 0x60
	s_load_b256 s[8:15], s[0:1], 0x40
	s_load_b256 s[0:7], s[0:1], 0x20
	v_subrev_nc_u32_e32 v0, s18, v20
	s_delay_alu instid0(VALU_DEP_1) | instskip(NEXT) | instid1(VALU_DEP_1)
	v_ashrrev_i32_e32 v1, 31, v0
	v_lshlrev_b64_e32 v[0:1], 3, v[0:1]
	s_wait_kmcnt 0x0
	s_delay_alu instid0(VALU_DEP_1) | instskip(NEXT) | instid1(VALU_DEP_1)
	v_add_co_u32 v0, vcc_lo, s24, v0
	v_add_co_ci_u32_e64 v1, null, s25, v1, vcc_lo
	s_sub_co_i32 s25, s19, s18
	s_clause 0x2
	global_load_b64 v[52:53], v[0:1], off offset:16
	global_load_b128 v[12:15], v[0:1], off
	global_load_b128 v[8:11], v[0:1], off offset:-16
	v_subrev_nc_u32_e32 v0, s0, v22
	s_wait_alu 0xfffe
	s_not_b32 s16, s25
	s_add_co_i32 s25, s25, 1
	s_wait_alu 0xfffe
	s_mul_i32 s16, s0, s16
	s_sub_co_i32 s0, s1, s0
	v_ashrrev_i32_e32 v1, 31, v0
	s_wait_alu 0xfffe
	s_add_co_i32 s24, s0, 1
	s_sub_co_i32 s1, s3, s2
	s_wait_alu 0xfffe
	s_mul_i32 s24, s24, s25
	s_mov_b32 s3, 0x3fe55555
	v_lshlrev_b64_e32 v[0:1], 3, v[0:1]
	s_wait_alu 0xfffe
	s_mul_i32 s0, s24, s2
	v_mul_lo_u32 v44, v50, s24
	s_wait_alu 0xfffe
	s_add_co_i32 s0, s18, s0
	s_wait_alu 0xfffe
	s_sub_co_i32 s0, s16, s0
	v_add_co_u32 v0, vcc_lo, s26, v0
	s_wait_alu 0xfffd
	v_add_co_ci_u32_e64 v1, null, s27, v1, vcc_lo
	s_add_co_i32 s16, s1, 1
	s_mov_b32 s1, 0x3fc55555
	s_clause 0x2
	global_load_b64 v[100:101], v[0:1], off offset:16
	global_load_b128 v[4:7], v[0:1], off
	global_load_b128 v[153:156], v[0:1], off offset:-16
	v_mul_lo_u32 v1, v22, s25
	s_wait_alu 0xfffe
	v_add_nc_u32_e32 v0, s0, v20
	s_mul_i32 s16, s16, s24
	s_wait_alu 0xfffe
	s_mul_i32 s17, s16, 3
	s_lshl_b32 s19, s16, 1
	s_lshl_b32 s18, s16, 2
	v_add_nc_u32_e32 v98, v1, v0
	v_add_nc_u32_e32 v0, v44, v0
	s_delay_alu instid0(VALU_DEP_2) | instskip(NEXT) | instid1(VALU_DEP_1)
	v_add_nc_u32_e32 v18, v98, v44
	v_ashrrev_i32_e32 v19, 31, v18
	s_delay_alu instid0(VALU_DEP_1) | instskip(NEXT) | instid1(VALU_DEP_1)
	v_lshlrev_b64_e32 v[54:55], 3, v[18:19]
	v_add_co_u32 v18, vcc_lo, s20, v54
	s_wait_alu 0xfffd
	s_delay_alu instid0(VALU_DEP_2)
	v_add_co_ci_u32_e64 v19, null, s21, v55, vcc_lo
	global_load_b64 v[18:19], v[18:19], off
	s_wait_loadcnt 0x3
	scratch_store_b64 off, v[100:101], off offset:20 ; 8-byte Folded Spill
	s_wait_loadcnt 0x2
	v_mul_f64_e32 v[16:17], v[12:13], v[4:5]
	s_wait_loadcnt 0x0
	s_delay_alu instid0(VALU_DEP_1) | instskip(NEXT) | instid1(VALU_DEP_1)
	v_div_scale_f64 v[23:24], null, v[18:19], v[18:19], v[16:17]
	v_rcp_f64_e32 v[25:26], v[23:24]
	s_delay_alu instid0(TRANS32_DEP_1) | instskip(NEXT) | instid1(VALU_DEP_1)
	v_fma_f64 v[27:28], -v[23:24], v[25:26], 1.0
	v_fma_f64 v[25:26], v[25:26], v[27:28], v[25:26]
	s_delay_alu instid0(VALU_DEP_1) | instskip(NEXT) | instid1(VALU_DEP_1)
	v_fma_f64 v[27:28], -v[23:24], v[25:26], 1.0
	v_fma_f64 v[25:26], v[25:26], v[27:28], v[25:26]
	v_div_scale_f64 v[27:28], vcc_lo, v[16:17], v[18:19], v[16:17]
	s_delay_alu instid0(VALU_DEP_1) | instskip(NEXT) | instid1(VALU_DEP_1)
	v_mul_f64_e32 v[29:30], v[27:28], v[25:26]
	v_fma_f64 v[23:24], -v[23:24], v[29:30], v[27:28]
	s_wait_alu 0xfffd
	s_delay_alu instid0(VALU_DEP_1) | instskip(NEXT) | instid1(VALU_DEP_1)
	v_div_fmas_f64 v[23:24], v[23:24], v[25:26], v[29:30]
	v_div_fixup_f64 v[2:3], v[23:24], v[18:19], v[16:17]
	v_div_scale_f64 v[18:19], null, v[4:5], v[4:5], 1.0
	scratch_store_b64 off, v[2:3], off      ; 8-byte Folded Spill
	v_rcp_f64_e32 v[23:24], v[18:19]
	v_add_nc_u32_e32 v2, -2, v20
	v_add3_u32 v3, v44, v1, s0
	s_sub_co_i32 s0, s0, s16
	s_wait_alu 0xfffe
	v_add_nc_u32_e32 v16, s0, v1
	v_add_nc_u32_e32 v17, s0, v20
	s_mov_b32 s0, 0x55555555
	s_wait_alu 0xfffe
	s_mov_b32 s2, s0
	v_add_nc_u32_e32 v166, v16, v2
	v_add_nc_u32_e32 v110, v1, v17
	;; [unrolled: 1-line block ×3, first 2 shown]
	s_delay_alu instid0(VALU_DEP_3) | instskip(NEXT) | instid1(VALU_DEP_3)
	v_add_nc_u32_e32 v164, v166, v44
	v_add_nc_u32_e32 v99, v110, v44
	s_delay_alu instid0(VALU_DEP_3) | instskip(SKIP_2) | instid1(VALU_DEP_3)
	v_add_nc_u32_e32 v36, v3, v1
	v_add_nc_u32_e32 v169, v16, v1
	;; [unrolled: 1-line block ×3, first 2 shown]
	v_ashrrev_i32_e32 v37, 31, v36
	s_delay_alu instid0(VALU_DEP_3) | instskip(NEXT) | instid1(VALU_DEP_3)
	v_add_nc_u32_e32 v165, v169, v44
	v_add_nc_u32_e32 v170, v16, v1
	s_delay_alu instid0(VALU_DEP_3) | instskip(NEXT) | instid1(VALU_DEP_2)
	v_lshlrev_b64_e32 v[36:37], 3, v[36:37]
	v_add_nc_u32_e32 v168, v170, v44
	s_delay_alu instid0(VALU_DEP_1) | instskip(NEXT) | instid1(VALU_DEP_1)
	v_add_nc_u32_e32 v41, s16, v168
	v_ashrrev_i32_e32 v42, 31, v41
	s_delay_alu instid0(TRANS32_DEP_1) | instskip(NEXT) | instid1(VALU_DEP_1)
	v_fma_f64 v[25:26], -v[18:19], v[23:24], 1.0
	v_fma_f64 v[23:24], v[23:24], v[25:26], v[23:24]
	s_delay_alu instid0(VALU_DEP_1) | instskip(NEXT) | instid1(VALU_DEP_1)
	v_fma_f64 v[25:26], -v[18:19], v[23:24], 1.0
	v_fma_f64 v[23:24], v[23:24], v[25:26], v[23:24]
	v_div_scale_f64 v[25:26], vcc_lo, 1.0, v[4:5], 1.0
	s_delay_alu instid0(VALU_DEP_1) | instskip(NEXT) | instid1(VALU_DEP_1)
	v_mul_f64_e32 v[27:28], v[25:26], v[23:24]
	v_fma_f64 v[18:19], -v[18:19], v[27:28], v[25:26]
	s_wait_alu 0xfffd
	s_delay_alu instid0(VALU_DEP_1) | instskip(NEXT) | instid1(VALU_DEP_1)
	v_div_fmas_f64 v[18:19], v[18:19], v[23:24], v[27:28]
	v_div_fixup_f64 v[56:57], v[18:19], v[4:5], 1.0
	v_div_scale_f64 v[18:19], null, v[12:13], v[12:13], 1.0
	s_delay_alu instid0(VALU_DEP_1) | instskip(NEXT) | instid1(TRANS32_DEP_1)
	v_rcp_f64_e32 v[23:24], v[18:19]
	v_fma_f64 v[25:26], -v[18:19], v[23:24], 1.0
	s_delay_alu instid0(VALU_DEP_1) | instskip(NEXT) | instid1(VALU_DEP_1)
	v_fma_f64 v[23:24], v[23:24], v[25:26], v[23:24]
	v_fma_f64 v[25:26], -v[18:19], v[23:24], 1.0
	s_delay_alu instid0(VALU_DEP_1) | instskip(SKIP_1) | instid1(VALU_DEP_1)
	v_fma_f64 v[23:24], v[23:24], v[25:26], v[23:24]
	v_div_scale_f64 v[25:26], vcc_lo, 1.0, v[12:13], 1.0
	v_mul_f64_e32 v[27:28], v[25:26], v[23:24]
	s_delay_alu instid0(VALU_DEP_1) | instskip(SKIP_1) | instid1(VALU_DEP_1)
	v_fma_f64 v[18:19], -v[18:19], v[27:28], v[25:26]
	s_wait_alu 0xfffd
	v_div_fmas_f64 v[18:19], v[18:19], v[23:24], v[27:28]
	v_add_nc_u32_e32 v23, v3, v2
	v_add_nc_u32_e32 v2, -1, v20
	v_add_nc_u32_e32 v20, v3, v1
	v_add_nc_u32_e32 v1, -2, v22
	s_delay_alu instid0(VALU_DEP_4) | instskip(NEXT) | instid1(VALU_DEP_4)
	v_ashrrev_i32_e32 v24, 31, v23
	v_add_nc_u32_e32 v25, v3, v2
	v_add_nc_u32_e32 v167, v16, v2
	v_ashrrev_i32_e32 v21, 31, v20
	v_mul_lo_u32 v1, v1, s25
	v_lshlrev_b64_e32 v[23:24], 3, v[23:24]
	v_ashrrev_i32_e32 v26, 31, v25
	v_add_nc_u32_e32 v163, v167, v44
	v_lshlrev_b64_e32 v[20:21], 3, v[20:21]
	s_delay_alu instid0(VALU_DEP_4)
	v_add_co_u32 v23, vcc_lo, s10, v23
	s_wait_alu 0xfffd
	v_add_co_ci_u32_e64 v24, null, s11, v24, vcc_lo
	v_lshlrev_b64_e32 v[25:26], 3, v[25:26]
	v_add_nc_u32_e32 v22, v0, v1
	v_add_nc_u32_e32 v157, v1, v17
	global_load_b64 v[62:63], v[23:24], off
	v_add_nc_u32_e32 v23, s16, v164
	v_add_nc_u32_e32 v1, s25, v1
	;; [unrolled: 1-line block ×3, first 2 shown]
	s_delay_alu instid0(VALU_DEP_3) | instskip(NEXT) | instid1(VALU_DEP_1)
	v_ashrrev_i32_e32 v24, 31, v23
	v_lshlrev_b64_e32 v[23:24], 3, v[23:24]
	v_div_fixup_f64 v[18:19], v[18:19], v[12:13], 1.0
	s_delay_alu instid0(VALU_DEP_2) | instskip(SKIP_1) | instid1(VALU_DEP_3)
	v_add_co_u32 v23, vcc_lo, s14, v23
	s_wait_alu 0xfffd
	v_add_co_ci_u32_e64 v24, null, s15, v24, vcc_lo
	v_add_co_u32 v25, vcc_lo, s10, v25
	s_wait_alu 0xfffd
	v_add_co_ci_u32_e64 v26, null, s11, v26, vcc_lo
	global_load_b64 v[64:65], v[23:24], off
	global_load_b64 v[58:59], v[25:26], off
	v_add_nc_u32_e32 v25, s16, v163
	s_delay_alu instid0(VALU_DEP_1) | instskip(NEXT) | instid1(VALU_DEP_1)
	v_ashrrev_i32_e32 v26, 31, v25
	v_lshlrev_b64_e32 v[25:26], 3, v[25:26]
	s_delay_alu instid0(VALU_DEP_1) | instskip(SKIP_1) | instid1(VALU_DEP_2)
	v_add_co_u32 v25, vcc_lo, s14, v25
	s_wait_alu 0xfffd
	v_add_co_ci_u32_e64 v26, null, s15, v26, vcc_lo
	v_add_co_u32 v29, vcc_lo, s10, v54
	s_wait_alu 0xfffd
	v_add_co_ci_u32_e64 v30, null, s11, v55, vcc_lo
	global_load_b64 v[60:61], v[25:26], off
	v_mul_f64_e32 v[76:77], v[18:19], v[56:57]
	global_load_b64 v[84:85], v[29:30], off
	v_add_nc_u32_e32 v29, s16, v99
	s_delay_alu instid0(VALU_DEP_1) | instskip(NEXT) | instid1(VALU_DEP_1)
	v_ashrrev_i32_e32 v30, 31, v29
	v_lshlrev_b64_e32 v[48:49], 3, v[29:30]
	s_delay_alu instid0(VALU_DEP_1) | instskip(SKIP_1) | instid1(VALU_DEP_2)
	v_add_co_u32 v30, vcc_lo, s14, v48
	s_wait_alu 0xfffd
	v_add_co_ci_u32_e64 v31, null, s15, v49, vcc_lo
	v_add_co_u32 v36, vcc_lo, s10, v36
	s_wait_alu 0xfffd
	v_add_co_ci_u32_e64 v37, null, s11, v37, vcc_lo
	global_load_b64 v[30:31], v[30:31], off
	global_load_b64 v[66:67], v[36:37], off
	v_add_nc_u32_e32 v36, s16, v165
	s_delay_alu instid0(VALU_DEP_1) | instskip(NEXT) | instid1(VALU_DEP_1)
	v_ashrrev_i32_e32 v37, 31, v36
	v_lshlrev_b64_e32 v[37:38], 3, v[36:37]
	s_delay_alu instid0(VALU_DEP_1) | instskip(SKIP_1) | instid1(VALU_DEP_2)
	v_add_co_u32 v37, vcc_lo, s14, v37
	s_wait_alu 0xfffd
	v_add_co_ci_u32_e64 v38, null, s15, v38, vcc_lo
	v_add_co_u32 v20, vcc_lo, s10, v20
	s_wait_alu 0xfffd
	v_add_co_ci_u32_e64 v21, null, s11, v21, vcc_lo
	global_load_b64 v[68:69], v[37:38], off
	global_load_b64 v[72:73], v[20:21], off
	v_lshlrev_b64_e32 v[20:21], 3, v[41:42]
	s_delay_alu instid0(VALU_DEP_1) | instskip(SKIP_1) | instid1(VALU_DEP_2)
	v_add_co_u32 v20, vcc_lo, s14, v20
	s_wait_alu 0xfffd
	v_add_co_ci_u32_e64 v21, null, s15, v21, vcc_lo
	global_load_b64 v[74:75], v[20:21], off
	s_wait_loadcnt 0x8
	v_mul_f64_e32 v[23:24], v[62:63], v[64:65]
	s_wait_loadcnt 0x6
	v_mul_f64_e32 v[25:26], v[58:59], v[60:61]
	s_delay_alu instid0(VALU_DEP_2) | instskip(SKIP_2) | instid1(VALU_DEP_3)
	v_mul_f64_e32 v[23:24], v[64:65], v[23:24]
	s_wait_loadcnt 0x4
	v_mul_f64_e32 v[34:35], v[84:85], v[30:31]
	v_mul_f64_e32 v[25:26], v[60:61], v[25:26]
	s_wait_loadcnt 0x2
	v_mul_f64_e32 v[37:38], v[66:67], v[68:69]
	s_delay_alu instid0(VALU_DEP_3) | instskip(SKIP_2) | instid1(VALU_DEP_4)
	v_mul_f64_e32 v[30:31], v[30:31], v[34:35]
	s_wait_loadcnt 0x0
	v_mul_f64_e32 v[20:21], v[72:73], v[74:75]
	v_mul_f64_e32 v[27:28], v[10:11], v[25:26]
	s_delay_alu instid0(VALU_DEP_4) | instskip(NEXT) | instid1(VALU_DEP_4)
	v_mul_f64_e32 v[37:38], v[68:69], v[37:38]
	v_mul_f64_e32 v[34:35], v[12:13], v[30:31]
	;; [unrolled: 1-line block ×4, first 2 shown]
	s_delay_alu instid0(VALU_DEP_4) | instskip(NEXT) | instid1(VALU_DEP_4)
	v_mul_f64_e32 v[39:40], v[14:15], v[37:38]
	v_fma_f64 v[42:43], v[8:9], v[23:24], v[34:35]
	v_fma_f64 v[25:26], v[10:11], v[25:26], v[34:35]
	s_delay_alu instid0(VALU_DEP_3) | instskip(NEXT) | instid1(VALU_DEP_3)
	v_fma_f64 v[23:24], v[8:9], v[23:24], v[39:40]
	v_fma_f64 v[42:43], 0xbfe80000, v[42:43], v[27:28]
	s_delay_alu instid0(VALU_DEP_2) | instskip(SKIP_3) | instid1(VALU_DEP_2)
	v_fma_f64 v[23:24], 0x40080000, v[25:26], v[23:24]
	v_fma_f64 v[25:26], v[52:53], v[20:21], v[27:28]
	;; [unrolled: 1-line block ×5, first 2 shown]
	s_delay_alu instid0(VALU_DEP_2) | instskip(SKIP_1) | instid1(VALU_DEP_1)
	v_fma_f64 v[27:28], 0xbfe80000, v[20:21], v[39:40]
	v_add_nc_u32_e32 v20, s17, v164
	v_ashrrev_i32_e32 v21, 31, v20
	s_delay_alu instid0(VALU_DEP_1) | instskip(NEXT) | instid1(VALU_DEP_1)
	v_lshlrev_b64_e32 v[20:21], 3, v[20:21]
	v_add_co_u32 v20, vcc_lo, s8, v20
	s_wait_alu 0xfffd
	s_delay_alu instid0(VALU_DEP_2) | instskip(SKIP_2) | instid1(VALU_DEP_1)
	v_add_co_ci_u32_e64 v21, null, s9, v21, vcc_lo
	global_load_b64 v[34:35], v[20:21], off
	v_add_nc_u32_e32 v20, s19, v29
	v_ashrrev_i32_e32 v21, 31, v20
	s_delay_alu instid0(VALU_DEP_1) | instskip(SKIP_1) | instid1(VALU_DEP_2)
	v_lshlrev_b64_e32 v[32:33], 3, v[20:21]
	v_add_nc_u32_e32 v20, v1, v17
	v_add_co_u32 v37, vcc_lo, s8, v32
	s_wait_alu 0xfffd
	s_delay_alu instid0(VALU_DEP_3) | instskip(NEXT) | instid1(VALU_DEP_3)
	v_add_co_ci_u32_e64 v38, null, s9, v33, vcc_lo
	v_add_nc_u32_e32 v2, v20, v44
	global_load_b64 v[80:81], v[37:38], off
	v_add_nc_u32_e32 v37, s17, v163
	scratch_store_b32 off, v2, off offset:8 ; 4-byte Folded Spill
	v_ashrrev_i32_e32 v38, 31, v37
	s_delay_alu instid0(VALU_DEP_1) | instskip(NEXT) | instid1(VALU_DEP_1)
	v_lshlrev_b64_e32 v[37:38], 3, v[37:38]
	v_add_co_u32 v37, vcc_lo, s8, v37
	s_wait_alu 0xfffd
	s_delay_alu instid0(VALU_DEP_2)
	v_add_co_ci_u32_e64 v38, null, s9, v38, vcc_lo
	global_load_b64 v[37:38], v[37:38], off
	s_wait_loadcnt 0x1
	v_add_f64_e64 v[34:35], v[34:35], -v[80:81]
	s_wait_loadcnt 0x0
	v_add_f64_e64 v[37:38], v[37:38], -v[80:81]
	s_delay_alu instid0(VALU_DEP_1) | instskip(SKIP_1) | instid1(VALU_DEP_1)
	v_mul_f64_e32 v[23:24], v[23:24], v[37:38]
	v_add_nc_u32_e32 v38, s16, v2
	v_ashrrev_i32_e32 v39, 31, v38
	s_delay_alu instid0(VALU_DEP_3) | instskip(SKIP_1) | instid1(VALU_DEP_1)
	v_fma_f64 v[23:24], v[42:43], v[34:35], v[23:24]
	v_add_nc_u32_e32 v34, s19, v36
	v_ashrrev_i32_e32 v35, 31, v34
	s_delay_alu instid0(VALU_DEP_1) | instskip(NEXT) | instid1(VALU_DEP_1)
	v_lshlrev_b64_e32 v[34:35], 3, v[34:35]
	v_add_co_u32 v34, vcc_lo, s8, v34
	s_wait_alu 0xfffd
	s_delay_alu instid0(VALU_DEP_2) | instskip(SKIP_3) | instid1(VALU_DEP_1)
	v_add_co_ci_u32_e64 v35, null, s9, v35, vcc_lo
	global_load_b64 v[34:35], v[34:35], off
	s_wait_loadcnt 0x0
	v_add_f64_e64 v[34:35], v[34:35], -v[80:81]
	v_fma_f64 v[23:24], v[25:26], v[34:35], v[23:24]
	v_add_nc_u32_e32 v25, s19, v41
	s_delay_alu instid0(VALU_DEP_1) | instskip(NEXT) | instid1(VALU_DEP_1)
	v_ashrrev_i32_e32 v26, 31, v25
	v_lshlrev_b64_e32 v[25:26], 3, v[25:26]
	s_delay_alu instid0(VALU_DEP_1) | instskip(SKIP_1) | instid1(VALU_DEP_2)
	v_add_co_u32 v25, vcc_lo, s8, v25
	s_wait_alu 0xfffd
	v_add_co_ci_u32_e64 v26, null, s9, v26, vcc_lo
	global_load_b64 v[25:26], v[25:26], off
	s_wait_loadcnt 0x0
	v_add_f64_e64 v[25:26], v[25:26], -v[80:81]
	s_delay_alu instid0(VALU_DEP_1) | instskip(NEXT) | instid1(VALU_DEP_1)
	v_fma_f64 v[23:24], v[27:28], v[25:26], v[23:24]
	v_mul_f64_e32 v[23:24], s[0:1], v[23:24]
	s_delay_alu instid0(VALU_DEP_1) | instskip(SKIP_1) | instid1(VALU_DEP_1)
	v_fma_f64 v[70:71], v[56:57], v[23:24], 0
	v_ashrrev_i32_e32 v23, 31, v22
	v_lshlrev_b64_e32 v[22:23], 3, v[22:23]
	s_delay_alu instid0(VALU_DEP_1) | instskip(SKIP_1) | instid1(VALU_DEP_2)
	v_add_co_u32 v22, vcc_lo, s10, v22
	s_wait_alu 0xfffd
	v_add_co_ci_u32_e64 v23, null, s11, v23, vcc_lo
	global_load_b64 v[36:37], v[22:23], off
	v_add_nc_u32_e32 v22, s16, v3
	s_delay_alu instid0(VALU_DEP_1) | instskip(NEXT) | instid1(VALU_DEP_1)
	v_ashrrev_i32_e32 v23, 31, v22
	v_lshlrev_b64_e32 v[22:23], 3, v[22:23]
	s_delay_alu instid0(VALU_DEP_1) | instskip(SKIP_1) | instid1(VALU_DEP_2)
	v_add_co_u32 v22, vcc_lo, s14, v22
	s_wait_alu 0xfffd
	v_add_co_ci_u32_e64 v23, null, s15, v23, vcc_lo
	global_load_b64 v[28:29], v[22:23], off
	s_wait_loadcnt 0x0
	v_mul_f64_e32 v[22:23], v[36:37], v[28:29]
	s_delay_alu instid0(VALU_DEP_1) | instskip(SKIP_2) | instid1(VALU_DEP_2)
	v_mul_f64_e32 v[26:27], v[28:29], v[22:23]
	v_add_nc_u32_e32 v22, v0, v1
	v_lshl_add_u32 v1, s25, 1, v1
	v_ashrrev_i32_e32 v23, 31, v22
	s_delay_alu instid0(VALU_DEP_2) | instskip(SKIP_2) | instid1(VALU_DEP_4)
	v_add_nc_u32_e32 v158, v1, v17
	v_add_nc_u32_e32 v30, v0, v1
	v_add_nc_u32_e32 v1, s25, v1
	v_lshlrev_b64_e32 v[22:23], 3, v[22:23]
	s_delay_alu instid0(VALU_DEP_4) | instskip(NEXT) | instid1(VALU_DEP_4)
	v_add_nc_u32_e32 v2, v158, v44
	v_ashrrev_i32_e32 v31, 31, v30
	s_delay_alu instid0(VALU_DEP_4) | instskip(NEXT) | instid1(VALU_DEP_4)
	v_add_nc_u32_e32 v159, v1, v17
	v_add_co_u32 v22, vcc_lo, s10, v22
	s_wait_alu 0xfffd
	v_add_co_ci_u32_e64 v23, null, s11, v23, vcc_lo
	v_lshlrev_b64_e32 v[30:31], 3, v[30:31]
	v_add_nc_u32_e32 v191, v159, v44
	v_add_nc_u32_e32 v82, s16, v2
	global_load_b64 v[24:25], v[22:23], off
	v_lshlrev_b64_e32 v[22:23], 3, v[38:39]
	v_add_nc_u32_e32 v2, s18, v2
	v_add_nc_u32_e32 v90, s16, v191
	v_ashrrev_i32_e32 v83, 31, v82
	s_delay_alu instid0(VALU_DEP_4)
	v_add_co_u32 v22, vcc_lo, s14, v22
	s_wait_alu 0xfffd
	v_add_co_ci_u32_e64 v23, null, s15, v23, vcc_lo
	v_add_co_u32 v30, vcc_lo, s10, v30
	s_wait_alu 0xfffd
	v_add_co_ci_u32_e64 v31, null, s11, v31, vcc_lo
	global_load_b64 v[22:23], v[22:23], off
	v_ashrrev_i32_e32 v91, 31, v90
	v_fma_f64 v[93:94], v[153:154], v[26:27], v[78:79]
	global_load_b64 v[30:31], v[30:31], off
	v_lshlrev_b64_e32 v[44:45], 3, v[90:91]
	s_wait_loadcnt 0x2
	scratch_store_b64 off, v[24:25], off offset:12 ; 8-byte Folded Spill
	s_wait_loadcnt 0x1
	v_mul_f64_e32 v[34:35], v[24:25], v[22:23]
	s_delay_alu instid0(VALU_DEP_1) | instskip(SKIP_1) | instid1(VALU_DEP_1)
	v_mul_f64_e32 v[39:40], v[22:23], v[34:35]
	v_lshlrev_b64_e32 v[34:35], 3, v[82:83]
	v_add_co_u32 v34, vcc_lo, s14, v34
	s_wait_alu 0xfffd
	s_delay_alu instid0(VALU_DEP_2) | instskip(SKIP_3) | instid1(VALU_DEP_2)
	v_add_co_ci_u32_e64 v35, null, s15, v35, vcc_lo
	global_load_b64 v[34:35], v[34:35], off
	v_mul_f64_e32 v[46:47], v[155:156], v[39:40]
	v_fma_f64 v[39:40], v[155:156], v[39:40], v[78:79]
	v_fma_f64 v[93:94], 0xbfe80000, v[93:94], v[46:47]
	s_wait_loadcnt 0x0
	v_mul_f64_e32 v[41:42], v[30:31], v[34:35]
	s_delay_alu instid0(VALU_DEP_1) | instskip(SKIP_2) | instid1(VALU_DEP_2)
	v_mul_f64_e32 v[86:87], v[34:35], v[41:42]
	v_add_nc_u32_e32 v41, v0, v1
	v_add_nc_u32_e32 v0, -2, v50
	v_ashrrev_i32_e32 v42, 31, v41
	s_delay_alu instid0(VALU_DEP_2) | instskip(NEXT) | instid1(VALU_DEP_2)
	v_mul_lo_u32 v161, v0, s24
	v_lshlrev_b64_e32 v[41:42], 3, v[41:42]
	s_delay_alu instid0(VALU_DEP_2) | instskip(SKIP_1) | instid1(VALU_DEP_3)
	v_add_nc_u32_e32 v50, v161, v98
	v_add_nc_u32_e32 v122, v161, v110
	v_add_co_u32 v41, vcc_lo, s10, v41
	s_wait_alu 0xfffd
	s_delay_alu instid0(VALU_DEP_4)
	v_add_co_ci_u32_e64 v42, null, s11, v42, vcc_lo
	v_add_co_u32 v44, vcc_lo, s14, v44
	s_wait_alu 0xfffd
	v_add_co_ci_u32_e64 v45, null, s15, v45, vcc_lo
	global_load_b64 v[42:43], v[41:42], off
	v_ashrrev_i32_e32 v51, 31, v50
	v_add_nc_u32_e32 v160, s24, v161
	global_load_b64 v[44:45], v[44:45], off
	v_lshlrev_b64_e32 v[50:51], 3, v[50:51]
	v_add_nc_u32_e32 v123, v160, v110
	v_lshl_add_u32 v162, s24, 1, v160
	s_delay_alu instid0(VALU_DEP_2) | instskip(SKIP_1) | instid1(VALU_DEP_3)
	v_add_nc_u32_e32 v176, s16, v123
	v_mul_f64_e32 v[88:89], v[6:7], v[86:87]
	v_add_nc_u32_e32 v126, v162, v110
	v_add_nc_u32_e32 v171, s24, v162
	s_delay_alu instid0(VALU_DEP_4) | instskip(NEXT) | instid1(VALU_DEP_3)
	v_ashrrev_i32_e32 v177, 31, v176
	v_add_nc_u32_e32 v106, s19, v126
	s_delay_alu instid0(VALU_DEP_3) | instskip(NEXT) | instid1(VALU_DEP_2)
	v_add_nc_u32_e32 v0, v171, v110
	v_ashrrev_i32_e32 v107, 31, v106
	s_delay_alu instid0(VALU_DEP_2) | instskip(NEXT) | instid1(VALU_DEP_2)
	v_add_nc_u32_e32 v118, s19, v0
	v_lshlrev_b64_e32 v[146:147], 3, v[106:107]
	v_add_nc_u32_e32 v106, s19, v106
	s_delay_alu instid0(VALU_DEP_3) | instskip(NEXT) | instid1(VALU_DEP_2)
	v_ashrrev_i32_e32 v119, 31, v118
	v_ashrrev_i32_e32 v107, 31, v106
	s_delay_alu instid0(VALU_DEP_2) | instskip(SKIP_1) | instid1(VALU_DEP_3)
	v_lshlrev_b64_e32 v[148:149], 3, v[118:119]
	v_add_nc_u32_e32 v118, s19, v118
	v_lshlrev_b64_e32 v[106:107], 3, v[106:107]
	s_delay_alu instid0(VALU_DEP_2) | instskip(NEXT) | instid1(VALU_DEP_1)
	v_ashrrev_i32_e32 v119, 31, v118
	v_lshlrev_b64_e32 v[118:119], 3, v[118:119]
	v_fma_f64 v[26:27], v[153:154], v[26:27], v[88:89]
	s_delay_alu instid0(VALU_DEP_1) | instskip(SKIP_3) | instid1(VALU_DEP_1)
	v_fma_f64 v[95:96], 0x40080000, v[39:40], v[26:27]
	v_fma_f64 v[39:40], v[6:7], v[86:87], v[78:79]
	s_wait_loadcnt 0x0
	v_mul_f64_e32 v[91:92], v[42:43], v[44:45]
	v_mul_f64_e32 v[91:92], v[44:45], v[91:92]
	s_delay_alu instid0(VALU_DEP_1) | instskip(NEXT) | instid1(VALU_DEP_1)
	v_fma_f64 v[26:27], v[100:101], v[91:92], v[46:47]
	v_fma_f64 v[46:47], 0x40080000, v[39:40], v[26:27]
	;; [unrolled: 1-line block ×3, first 2 shown]
	s_delay_alu instid0(VALU_DEP_1) | instskip(SKIP_1) | instid1(VALU_DEP_1)
	v_fma_f64 v[78:79], 0xbfe80000, v[26:27], v[88:89]
	v_add_nc_u32_e32 v26, s17, v3
	v_ashrrev_i32_e32 v27, 31, v26
	s_delay_alu instid0(VALU_DEP_1) | instskip(NEXT) | instid1(VALU_DEP_1)
	v_lshlrev_b64_e32 v[40:41], 3, v[26:27]
	v_add_co_u32 v26, vcc_lo, s8, v40
	s_wait_alu 0xfffd
	s_delay_alu instid0(VALU_DEP_2) | instskip(SKIP_4) | instid1(VALU_DEP_1)
	v_add_co_ci_u32_e64 v27, null, s9, v41, vcc_lo
	global_load_b64 v[26:27], v[26:27], off
	s_wait_loadcnt 0x0
	v_add_f64_e64 v[86:87], v[26:27], -v[80:81]
	v_add_nc_u32_e32 v26, s19, v38
	v_ashrrev_i32_e32 v27, 31, v26
	s_delay_alu instid0(VALU_DEP_1) | instskip(NEXT) | instid1(VALU_DEP_1)
	v_lshlrev_b64_e32 v[26:27], 3, v[26:27]
	v_add_co_u32 v38, vcc_lo, s8, v26
	s_wait_alu 0xfffd
	s_delay_alu instid0(VALU_DEP_2) | instskip(SKIP_3) | instid1(VALU_DEP_1)
	v_add_co_ci_u32_e64 v39, null, s9, v27, vcc_lo
	global_load_b64 v[38:39], v[38:39], off
	s_wait_loadcnt 0x0
	v_add_f64_e64 v[38:39], v[38:39], -v[80:81]
	v_mul_f64_e32 v[38:39], v[95:96], v[38:39]
	v_add_nc_u32_e32 v96, s19, v123
	s_delay_alu instid0(VALU_DEP_1) | instskip(NEXT) | instid1(VALU_DEP_1)
	v_ashrrev_i32_e32 v97, 31, v96
	v_lshlrev_b64_e32 v[138:139], 3, v[96:97]
	v_add_nc_u32_e32 v96, s19, v96
	s_delay_alu instid0(VALU_DEP_1) | instskip(NEXT) | instid1(VALU_DEP_1)
	v_ashrrev_i32_e32 v97, 31, v96
	v_lshlrev_b64_e32 v[96:97], 3, v[96:97]
	v_fma_f64 v[86:87], v[93:94], v[86:87], v[38:39]
	v_add_nc_u32_e32 v38, s19, v82
	s_delay_alu instid0(VALU_DEP_1) | instskip(NEXT) | instid1(VALU_DEP_1)
	v_ashrrev_i32_e32 v39, 31, v38
	v_lshlrev_b64_e32 v[38:39], 3, v[38:39]
	s_delay_alu instid0(VALU_DEP_1) | instskip(SKIP_1) | instid1(VALU_DEP_2)
	v_add_co_u32 v82, vcc_lo, s8, v38
	s_wait_alu 0xfffd
	v_add_co_ci_u32_e64 v83, null, s9, v39, vcc_lo
	global_load_b64 v[82:83], v[82:83], off
	s_wait_loadcnt 0x0
	v_add_f64_e64 v[82:83], v[82:83], -v[80:81]
	s_delay_alu instid0(VALU_DEP_1) | instskip(SKIP_1) | instid1(VALU_DEP_1)
	v_fma_f64 v[82:83], v[46:47], v[82:83], v[86:87]
	v_add_nc_u32_e32 v46, s19, v90
	v_ashrrev_i32_e32 v47, 31, v46
	s_delay_alu instid0(VALU_DEP_1) | instskip(NEXT) | instid1(VALU_DEP_1)
	v_lshlrev_b64_e32 v[46:47], 3, v[46:47]
	v_add_co_u32 v86, vcc_lo, s8, v46
	s_wait_alu 0xfffd
	s_delay_alu instid0(VALU_DEP_2) | instskip(SKIP_3) | instid1(VALU_DEP_1)
	v_add_co_ci_u32_e64 v87, null, s9, v47, vcc_lo
	global_load_b64 v[86:87], v[86:87], off
	s_wait_loadcnt 0x0
	v_add_f64_e64 v[86:87], v[86:87], -v[80:81]
	v_fma_f64 v[78:79], v[78:79], v[86:87], v[82:83]
	s_delay_alu instid0(VALU_DEP_1) | instskip(NEXT) | instid1(VALU_DEP_1)
	v_mul_f64_e32 v[78:79], s[0:1], v[78:79]
	v_fma_f64 v[70:71], v[18:19], v[78:79], v[70:71]
	v_add_co_u32 v78, vcc_lo, s10, v50
	s_wait_alu 0xfffd
	v_add_co_ci_u32_e64 v79, null, s11, v51, vcc_lo
	v_add_co_u32 v50, vcc_lo, s12, v50
	s_wait_alu 0xfffd
	v_add_co_ci_u32_e64 v51, null, s13, v51, vcc_lo
	global_load_b64 v[82:83], v[78:79], off
	global_load_b64 v[92:93], v[50:51], off
	v_add_nc_u32_e32 v50, s19, v122
	s_delay_alu instid0(VALU_DEP_1) | instskip(NEXT) | instid1(VALU_DEP_1)
	v_ashrrev_i32_e32 v51, 31, v50
	v_lshlrev_b64_e32 v[134:135], 3, v[50:51]
	v_add_nc_u32_e32 v50, s19, v50
	s_delay_alu instid0(VALU_DEP_1) | instskip(NEXT) | instid1(VALU_DEP_3)
	v_ashrrev_i32_e32 v51, 31, v50
	v_add_co_u32 v86, vcc_lo, s14, v134
	s_wait_alu 0xfffd
	s_delay_alu instid0(VALU_DEP_4) | instskip(NEXT) | instid1(VALU_DEP_3)
	v_add_co_ci_u32_e64 v87, null, s15, v135, vcc_lo
	v_lshlrev_b64_e32 v[50:51], 3, v[50:51]
	global_load_b64 v[86:87], v[86:87], off
	v_add_co_u32 v50, vcc_lo, s14, v50
	s_wait_alu 0xfffd
	v_add_co_ci_u32_e64 v51, null, s15, v51, vcc_lo
	global_load_b64 v[94:95], v[50:51], off
	v_add_nc_u32_e32 v50, v160, v98
	s_delay_alu instid0(VALU_DEP_1) | instskip(NEXT) | instid1(VALU_DEP_1)
	v_ashrrev_i32_e32 v51, 31, v50
	v_lshlrev_b64_e32 v[88:89], 3, v[50:51]
	s_delay_alu instid0(VALU_DEP_1) | instskip(SKIP_1) | instid1(VALU_DEP_2)
	v_add_co_u32 v50, vcc_lo, s10, v88
	s_wait_alu 0xfffd
	v_add_co_ci_u32_e64 v51, null, s11, v89, vcc_lo
	v_add_co_u32 v88, vcc_lo, s12, v88
	s_wait_alu 0xfffd
	v_add_co_ci_u32_e64 v89, null, s13, v89, vcc_lo
	;; [unrolled: 3-line block ×5, first 2 shown]
	global_load_b64 v[50:51], v[50:51], off
	global_load_b64 v[88:89], v[88:89], off
	s_clause 0x1
	global_load_b64 v[90:91], v[90:91], off
	global_load_b64 v[96:97], v[96:97], off
	global_load_b64 v[136:137], v[54:55], off
	v_add_nc_u32_e32 v54, s19, v99
	s_delay_alu instid0(VALU_DEP_1) | instskip(NEXT) | instid1(VALU_DEP_1)
	v_ashrrev_i32_e32 v55, 31, v54
	v_lshlrev_b64_e32 v[142:143], 3, v[54:55]
	v_add_nc_u32_e32 v54, s19, v54
	s_delay_alu instid0(VALU_DEP_2) | instskip(SKIP_1) | instid1(VALU_DEP_3)
	v_add_co_u32 v99, vcc_lo, s14, v142
	s_wait_alu 0xfffd
	v_add_co_ci_u32_e64 v100, null, s15, v143, vcc_lo
	s_delay_alu instid0(VALU_DEP_3) | instskip(SKIP_2) | instid1(VALU_DEP_1)
	v_ashrrev_i32_e32 v55, 31, v54
	global_load_b64 v[140:141], v[99:100], off
	v_lshlrev_b64_e32 v[54:55], 3, v[54:55]
	v_add_co_u32 v54, vcc_lo, s14, v54
	s_wait_alu 0xfffd
	s_delay_alu instid0(VALU_DEP_2) | instskip(SKIP_3) | instid1(VALU_DEP_2)
	v_add_co_ci_u32_e64 v55, null, s15, v55, vcc_lo
	global_load_b64 v[132:133], v[54:55], off
	v_add_nc_u32_e32 v54, v162, v98
	v_add_nc_u32_e32 v98, v171, v98
	v_ashrrev_i32_e32 v55, 31, v54
	s_wait_loadcnt 0x5
	v_add_f64_e32 v[108:109], v[50:51], v[88:89]
	s_wait_loadcnt 0x2
	v_add_f64_e32 v[124:125], v[84:85], v[136:137]
	s_delay_alu instid0(VALU_DEP_2) | instskip(SKIP_1) | instid1(VALU_DEP_2)
	v_mul_f64_e32 v[114:115], v[108:109], v[90:91]
	s_wait_loadcnt 0x1
	v_mul_f64_e32 v[99:100], v[124:125], v[140:141]
	s_delay_alu instid0(VALU_DEP_2) | instskip(SKIP_1) | instid1(VALU_DEP_2)
	v_mul_f64_e32 v[116:117], v[114:115], v[96:97]
	s_wait_loadcnt 0x0
	v_mul_f64_e32 v[120:121], v[99:100], v[132:133]
	v_lshlrev_b64_e32 v[99:100], 3, v[54:55]
	s_delay_alu instid0(VALU_DEP_1) | instskip(SKIP_1) | instid1(VALU_DEP_2)
	v_add_co_u32 v54, vcc_lo, s10, v99
	s_wait_alu 0xfffd
	v_add_co_ci_u32_e64 v55, null, s11, v100, vcc_lo
	v_add_co_u32 v99, vcc_lo, s12, v99
	s_wait_alu 0xfffd
	v_add_co_ci_u32_e64 v100, null, s13, v100, vcc_lo
	global_load_b64 v[54:55], v[54:55], off
	v_add_co_u32 v102, vcc_lo, s14, v146
	global_load_b64 v[100:101], v[99:100], off
	s_wait_alu 0xfffd
	v_add_co_ci_u32_e64 v103, null, s15, v147, vcc_lo
	v_ashrrev_i32_e32 v99, 31, v98
	v_add_co_u32 v106, vcc_lo, s14, v106
	global_load_b64 v[102:103], v[102:103], off
	s_wait_alu 0xfffd
	v_add_co_ci_u32_e64 v107, null, s15, v107, vcc_lo
	v_lshlrev_b64_e32 v[111:112], 3, v[98:99]
	v_add_f64_e32 v[78:79], v[82:83], v[92:93]
	global_load_b64 v[106:107], v[106:107], off
	v_add_co_u32 v98, vcc_lo, s10, v111
	s_wait_alu 0xfffd
	v_add_co_ci_u32_e64 v99, null, s11, v112, vcc_lo
	v_add_co_u32 v111, vcc_lo, s12, v111
	s_wait_alu 0xfffd
	v_add_co_ci_u32_e64 v112, null, s13, v112, vcc_lo
	global_load_b64 v[98:99], v[98:99], off
	v_add_co_u32 v110, vcc_lo, s14, v148
	global_load_b64 v[112:113], v[111:112], off
	s_wait_alu 0xfffd
	v_add_co_ci_u32_e64 v111, null, s15, v149, vcc_lo
	v_add_co_u32 v118, vcc_lo, s14, v118
	s_wait_alu 0xfffd
	v_add_co_ci_u32_e64 v119, null, s15, v119, vcc_lo
	global_load_b64 v[110:111], v[110:111], off
	v_fma_f64 v[114:115], v[114:115], v[96:97], v[120:121]
	global_load_b64 v[118:119], v[118:119], off
	v_mul_f64_e32 v[104:105], v[78:79], v[86:87]
	s_delay_alu instid0(VALU_DEP_1) | instskip(NEXT) | instid1(VALU_DEP_1)
	v_fma_f64 v[174:175], v[104:105], v[94:95], v[120:121]
	v_fma_f64 v[174:175], 0xbfe80000, v[174:175], v[116:117]
	s_wait_loadcnt 0x6
	v_add_f64_e32 v[150:151], v[54:55], v[100:101]
	s_wait_loadcnt 0x2
	v_add_f64_e32 v[172:173], v[98:99], v[112:113]
	s_delay_alu instid0(VALU_DEP_2) | instskip(SKIP_1) | instid1(VALU_DEP_2)
	v_mul_f64_e32 v[127:128], v[150:151], v[102:103]
	s_wait_loadcnt 0x1
	v_mul_f64_e32 v[144:145], v[172:173], v[110:111]
	s_delay_alu instid0(VALU_DEP_2) | instskip(NEXT) | instid1(VALU_DEP_1)
	v_mul_f64_e32 v[129:130], v[127:128], v[106:107]
	v_fma_f64 v[104:105], v[104:105], v[94:95], v[129:130]
	s_delay_alu instid0(VALU_DEP_1) | instskip(SKIP_1) | instid1(VALU_DEP_4)
	v_fma_f64 v[104:105], 0x40080000, v[114:115], v[104:105]
	s_wait_loadcnt 0x0
	v_fma_f64 v[114:115], v[144:145], v[118:119], v[116:117]
	v_fma_f64 v[116:117], v[127:128], v[106:107], v[120:121]
	s_delay_alu instid0(VALU_DEP_1) | instskip(SKIP_2) | instid1(VALU_DEP_1)
	v_fma_f64 v[127:128], 0x40080000, v[116:117], v[114:115]
	v_fma_f64 v[114:115], v[144:145], v[118:119], v[120:121]
	v_add_nc_u32_e32 v144, s16, v122
	v_ashrrev_i32_e32 v145, 31, v144
	s_delay_alu instid0(VALU_DEP_1) | instskip(NEXT) | instid1(VALU_DEP_4)
	v_lshlrev_b64_e32 v[116:117], 3, v[144:145]
	v_fma_f64 v[129:130], 0xbfe80000, v[114:115], v[129:130]
	s_delay_alu instid0(VALU_DEP_2) | instskip(SKIP_1) | instid1(VALU_DEP_3)
	v_add_co_u32 v114, vcc_lo, s8, v116
	s_wait_alu 0xfffd
	v_add_co_ci_u32_e64 v115, null, s9, v117, vcc_lo
	v_add_co_u32 v48, vcc_lo, s8, v48
	s_wait_alu 0xfffd
	v_add_co_ci_u32_e64 v49, null, s9, v49, vcc_lo
	s_clause 0x1
	global_load_b64 v[114:115], v[114:115], off
	global_load_b64 v[48:49], v[48:49], off
	s_wait_loadcnt 0x0
	v_add_f64_e64 v[120:121], v[114:115], -v[48:49]
	v_lshlrev_b64_e32 v[114:115], 3, v[176:177]
	v_add_nc_u32_e32 v177, s16, v0
	s_delay_alu instid0(VALU_DEP_2) | instskip(SKIP_1) | instid1(VALU_DEP_3)
	v_add_co_u32 v122, vcc_lo, s8, v114
	s_wait_alu 0xfffd
	v_add_co_ci_u32_e64 v123, null, s9, v115, vcc_lo
	s_delay_alu instid0(VALU_DEP_3) | instskip(SKIP_3) | instid1(VALU_DEP_1)
	v_ashrrev_i32_e32 v178, 31, v177
	global_load_b64 v[122:123], v[122:123], off
	s_wait_loadcnt 0x0
	v_add_f64_e64 v[122:123], v[122:123], -v[48:49]
	v_mul_f64_e32 v[104:105], v[104:105], v[122:123]
	s_delay_alu instid0(VALU_DEP_1) | instskip(SKIP_1) | instid1(VALU_DEP_1)
	v_fma_f64 v[104:105], v[174:175], v[120:121], v[104:105]
	v_add_nc_u32_e32 v174, s16, v126
	v_ashrrev_i32_e32 v175, 31, v174
	s_delay_alu instid0(VALU_DEP_1) | instskip(NEXT) | instid1(VALU_DEP_1)
	v_lshlrev_b64_e32 v[120:121], 3, v[174:175]
	v_add_co_u32 v122, vcc_lo, s8, v120
	s_wait_alu 0xfffd
	s_delay_alu instid0(VALU_DEP_2) | instskip(SKIP_3) | instid1(VALU_DEP_1)
	v_add_co_ci_u32_e64 v123, null, s9, v121, vcc_lo
	global_load_b64 v[122:123], v[122:123], off
	s_wait_loadcnt 0x0
	v_add_f64_e64 v[122:123], v[122:123], -v[48:49]
	v_fma_f64 v[104:105], v[127:128], v[122:123], v[104:105]
	v_lshlrev_b64_e32 v[122:123], 3, v[177:178]
	s_delay_alu instid0(VALU_DEP_1) | instskip(SKIP_1) | instid1(VALU_DEP_2)
	v_add_co_u32 v126, vcc_lo, s8, v122
	s_wait_alu 0xfffd
	v_add_co_ci_u32_e64 v127, null, s9, v123, vcc_lo
	global_load_b64 v[126:127], v[126:127], off
	s_wait_loadcnt 0x0
	v_add_f64_e64 v[48:49], v[126:127], -v[48:49]
	s_delay_alu instid0(VALU_DEP_1) | instskip(NEXT) | instid1(VALU_DEP_1)
	v_fma_f64 v[48:49], v[129:130], v[48:49], v[104:105]
	v_mul_f64_e32 v[48:49], s[0:1], v[48:49]
	s_delay_alu instid0(VALU_DEP_1) | instskip(SKIP_1) | instid1(VALU_DEP_1)
	v_fma_f64 v[48:49], v[56:57], v[48:49], v[70:71]
	v_add_nc_u32_e32 v70, s19, v144
	v_ashrrev_i32_e32 v71, 31, v70
	s_delay_alu instid0(VALU_DEP_1) | instskip(NEXT) | instid1(VALU_DEP_1)
	v_lshlrev_b64_e32 v[130:131], 3, v[70:71]
	v_add_co_u32 v70, vcc_lo, s14, v130
	s_wait_alu 0xfffd
	s_delay_alu instid0(VALU_DEP_2) | instskip(SKIP_2) | instid1(VALU_DEP_1)
	v_add_co_ci_u32_e64 v71, null, s15, v131, vcc_lo
	global_load_b64 v[104:105], v[70:71], off
	v_add_nc_u32_e32 v70, s19, v176
	v_ashrrev_i32_e32 v71, 31, v70
	s_delay_alu instid0(VALU_DEP_1) | instskip(NEXT) | instid1(VALU_DEP_1)
	v_lshlrev_b64_e32 v[128:129], 3, v[70:71]
	v_add_co_u32 v70, vcc_lo, s14, v128
	s_wait_alu 0xfffd
	s_delay_alu instid0(VALU_DEP_2)
	v_add_co_ci_u32_e64 v71, null, s15, v129, vcc_lo
	global_load_b64 v[70:71], v[70:71], off
	s_wait_loadcnt 0x1
	v_mul_f64_e32 v[178:179], v[78:79], v[104:105]
	v_add_co_u32 v78, vcc_lo, s14, v32
	s_wait_alu 0xfffd
	v_add_co_ci_u32_e64 v79, null, s15, v33, vcc_lo
	global_load_b64 v[144:145], v[78:79], off
	s_wait_loadcnt 0x1
	v_mul_f64_e32 v[175:176], v[108:109], v[70:71]
	v_add_nc_u32_e32 v108, s19, v177
	s_delay_alu instid0(VALU_DEP_1) | instskip(NEXT) | instid1(VALU_DEP_3)
	v_ashrrev_i32_e32 v109, 31, v108
	v_mul_f64_e32 v[180:181], v[96:97], v[175:176]
	s_wait_loadcnt 0x0
	v_mul_f64_e32 v[78:79], v[124:125], v[144:145]
	s_delay_alu instid0(VALU_DEP_3) | instskip(NEXT) | instid1(VALU_DEP_2)
	v_lshlrev_b64_e32 v[124:125], 3, v[108:109]
	v_mul_f64_e32 v[182:183], v[132:133], v[78:79]
	v_add_nc_u32_e32 v78, s19, v174
	s_delay_alu instid0(VALU_DEP_1) | instskip(NEXT) | instid1(VALU_DEP_1)
	v_ashrrev_i32_e32 v79, 31, v78
	v_lshlrev_b64_e32 v[126:127], 3, v[78:79]
	s_delay_alu instid0(VALU_DEP_1) | instskip(SKIP_1) | instid1(VALU_DEP_2)
	v_add_co_u32 v78, vcc_lo, s14, v126
	s_wait_alu 0xfffd
	v_add_co_ci_u32_e64 v79, null, s15, v127, vcc_lo
	v_add_co_u32 v108, vcc_lo, s14, v124
	s_wait_alu 0xfffd
	v_add_co_ci_u32_e64 v109, null, s15, v125, vcc_lo
	global_load_b64 v[78:79], v[78:79], off
	v_add_co_u32 v134, vcc_lo, s8, v134
	s_wait_alu 0xfffd
	v_add_co_ci_u32_e64 v135, null, s9, v135, vcc_lo
	v_add_co_u32 v142, vcc_lo, s8, v142
	s_wait_alu 0xfffd
	v_add_co_ci_u32_e64 v143, null, s9, v143, vcc_lo
	;; [unrolled: 3-line block ×3, first 2 shown]
	s_clause 0x1
	global_load_b64 v[134:135], v[134:135], off
	global_load_b64 v[142:143], v[142:143], off
	;; [unrolled: 1-line block ×4, first 2 shown]
	v_fma_f64 v[186:187], v[94:95], v[178:179], v[182:183]
	v_fma_f64 v[174:175], v[96:97], v[175:176], v[182:183]
	s_delay_alu instid0(VALU_DEP_2)
	v_fma_f64 v[186:187], 0xbfe80000, v[186:187], v[180:181]
	s_wait_loadcnt 0x4
	v_mul_f64_e32 v[150:151], v[150:151], v[78:79]
	s_wait_loadcnt 0x2
	v_add_f64_e64 v[134:135], v[134:135], -v[142:143]
	s_wait_loadcnt 0x1
	v_mul_f64_e32 v[172:173], v[172:173], v[108:109]
	s_wait_loadcnt 0x0
	v_add_f64_e64 v[138:139], v[138:139], -v[142:143]
	s_delay_alu instid0(VALU_DEP_4) | instskip(SKIP_1) | instid1(VALU_DEP_2)
	v_mul_f64_e32 v[184:185], v[106:107], v[150:151]
	v_fma_f64 v[150:151], v[106:107], v[150:151], v[182:183]
	v_fma_f64 v[177:178], v[94:95], v[178:179], v[184:185]
	s_delay_alu instid0(VALU_DEP_1) | instskip(SKIP_3) | instid1(VALU_DEP_1)
	v_fma_f64 v[174:175], 0x40080000, v[174:175], v[177:178]
	v_fma_f64 v[176:177], v[118:119], v[172:173], v[180:181]
	;; [unrolled: 1-line block ×3, first 2 shown]
	v_add3_u32 v182, v162, v167, s16
	v_ashrrev_i32_e32 v183, 31, v182
	v_mul_f64_e32 v[138:139], v[174:175], v[138:139]
	v_fma_f64 v[150:151], 0x40080000, v[150:151], v[176:177]
	v_fma_f64 v[172:173], 0xbfe80000, v[172:173], v[184:185]
	s_delay_alu instid0(VALU_DEP_4) | instskip(NEXT) | instid1(VALU_DEP_4)
	v_lshlrev_b64_e32 v[183:184], 3, v[182:183]
	v_fma_f64 v[134:135], v[186:187], v[134:135], v[138:139]
	v_add_co_u32 v138, vcc_lo, s8, v146
	s_wait_alu 0xfffd
	v_add_co_ci_u32_e64 v139, null, s9, v147, vcc_lo
	v_mul_f64_e32 v[146:147], v[4:5], v[70:71]
	global_load_b64 v[138:139], v[138:139], off
	v_mul_f64_e32 v[146:147], v[70:71], v[146:147]
	s_delay_alu instid0(VALU_DEP_1) | instskip(SKIP_2) | instid1(VALU_DEP_1)
	v_mul_f64_e32 v[146:147], v[4:5], v[146:147]
	s_wait_loadcnt 0x0
	v_add_f64_e64 v[138:139], v[138:139], -v[142:143]
	v_fma_f64 v[134:135], v[150:151], v[138:139], v[134:135]
	v_add_co_u32 v138, vcc_lo, s8, v148
	s_wait_alu 0xfffd
	v_add_co_ci_u32_e64 v139, null, s9, v149, vcc_lo
	v_add_co_u32 v130, vcc_lo, s8, v130
	s_wait_alu 0xfffd
	v_add_co_ci_u32_e64 v131, null, s9, v131, vcc_lo
	global_load_b64 v[138:139], v[138:139], off
	v_add_co_u32 v128, vcc_lo, s8, v128
	s_wait_alu 0xfffd
	v_add_co_ci_u32_e64 v129, null, s9, v129, vcc_lo
	global_load_b64 v[130:131], v[130:131], off
	v_add_co_u32 v126, vcc_lo, s8, v126
	global_load_b64 v[128:129], v[128:129], off
	s_wait_alu 0xfffd
	v_add_co_ci_u32_e64 v127, null, s9, v127, vcc_lo
	v_add_co_u32 v124, vcc_lo, s8, v124
	s_wait_alu 0xfffd
	v_add_co_ci_u32_e64 v125, null, s9, v125, vcc_lo
	global_load_b64 v[126:127], v[126:127], off
	v_add3_u32 v148, v161, v167, s16
	global_load_b64 v[124:125], v[124:125], off
	v_ashrrev_i32_e32 v149, 31, v148
	v_add_nc_u32_e32 v178, s19, v148
	s_delay_alu instid0(VALU_DEP_2) | instskip(NEXT) | instid1(VALU_DEP_2)
	v_lshlrev_b64_e32 v[149:150], 3, v[148:149]
	v_ashrrev_i32_e32 v179, 31, v178
	s_delay_alu instid0(VALU_DEP_1)
	v_lshlrev_b64_e32 v[178:179], 3, v[178:179]
	s_wait_loadcnt 0x4
	v_add_f64_e64 v[138:139], v[138:139], -v[142:143]
	v_mul_f64_e32 v[142:143], v[4:5], v[104:105]
	s_wait_loadcnt 0x3
	v_add_f64_e64 v[130:131], v[130:131], -v[80:81]
	s_wait_loadcnt 0x2
	v_add_f64_e64 v[128:129], v[128:129], -v[80:81]
	;; [unrolled: 2-line block ×4, first 2 shown]
	v_add3_u32 v124, v171, v166, s16
	s_delay_alu instid0(VALU_DEP_1) | instskip(SKIP_3) | instid1(VALU_DEP_3)
	v_ashrrev_i32_e32 v125, 31, v124
	v_fma_f64 v[134:135], v[172:173], v[138:139], v[134:135]
	v_mul_f64_e32 v[138:139], v[12:13], v[86:87]
	v_mul_f64_e32 v[142:143], v[104:105], v[142:143]
	;; [unrolled: 1-line block ×3, first 2 shown]
	s_delay_alu instid0(VALU_DEP_3) | instskip(NEXT) | instid1(VALU_DEP_3)
	v_mul_f64_e32 v[138:139], v[86:87], v[138:139]
	v_mul_f64_e32 v[142:143], v[4:5], v[142:143]
	;; [unrolled: 1-line block ×3, first 2 shown]
	s_delay_alu instid0(VALU_DEP_4) | instskip(SKIP_1) | instid1(VALU_DEP_4)
	v_fma_f64 v[0:1], v[18:19], v[134:135], v[48:49]
	v_fma_f64 v[134:135], v[82:83], 2.0, v[92:93]
	v_fma_f64 v[138:139], v[12:13], v[138:139], v[142:143]
	v_mul_f64_e32 v[142:143], v[12:13], v[90:91]
	v_mul_f64_e32 v[92:93], v[92:93], v[94:95]
	scratch_store_b64 off, v[0:1], off offset:28 ; 8-byte Folded Spill
	v_mul_f64_e32 v[134:135], v[134:135], v[94:95]
	v_mul_f64_e32 v[138:139], v[82:83], v[138:139]
	;; [unrolled: 1-line block ×3, first 2 shown]
	s_delay_alu instid0(VALU_DEP_2) | instskip(SKIP_1) | instid1(VALU_DEP_3)
	v_fma_f64 v[138:139], v[94:95], v[134:135], v[138:139]
	v_fma_f64 v[134:135], v[50:51], 2.0, v[88:89]
	v_fma_f64 v[142:143], v[12:13], v[142:143], v[146:147]
	s_delay_alu instid0(VALU_DEP_2) | instskip(NEXT) | instid1(VALU_DEP_2)
	v_mul_f64_e32 v[134:135], v[134:135], v[96:97]
	v_mul_f64_e32 v[142:143], v[50:51], v[142:143]
	s_delay_alu instid0(VALU_DEP_1) | instskip(SKIP_2) | instid1(VALU_DEP_2)
	v_fma_f64 v[142:143], v[96:97], v[134:135], v[142:143]
	v_fma_f64 v[134:135], v[84:85], 2.0, v[136:137]
	v_mul_f64_e32 v[136:137], v[12:13], v[140:141]
	v_mul_f64_e32 v[134:135], v[134:135], v[132:133]
	s_delay_alu instid0(VALU_DEP_2) | instskip(SKIP_1) | instid1(VALU_DEP_1)
	v_mul_f64_e32 v[136:137], v[140:141], v[136:137]
	v_mul_f64_e32 v[140:141], v[4:5], v[144:145]
	;; [unrolled: 1-line block ×3, first 2 shown]
	s_delay_alu instid0(VALU_DEP_1) | instskip(NEXT) | instid1(VALU_DEP_1)
	v_mul_f64_e32 v[140:141], v[4:5], v[140:141]
	v_fma_f64 v[136:137], v[12:13], v[136:137], v[140:141]
	s_delay_alu instid0(VALU_DEP_1) | instskip(SKIP_1) | instid1(VALU_DEP_2)
	v_mul_f64_e32 v[84:85], v[84:85], v[136:137]
	v_mul_f64_e32 v[136:137], v[4:5], v[78:79]
	v_fma_f64 v[84:85], v[132:133], v[134:135], v[84:85]
	v_mul_f64_e32 v[134:135], v[12:13], v[102:103]
	s_delay_alu instid0(VALU_DEP_3) | instskip(SKIP_1) | instid1(VALU_DEP_3)
	v_mul_f64_e32 v[136:137], v[78:79], v[136:137]
	v_fma_f64 v[132:133], v[54:55], 2.0, v[100:101]
	v_mul_f64_e32 v[134:135], v[102:103], v[134:135]
	s_delay_alu instid0(VALU_DEP_3) | instskip(NEXT) | instid1(VALU_DEP_3)
	v_mul_f64_e32 v[136:137], v[4:5], v[136:137]
	v_mul_f64_e32 v[132:133], v[132:133], v[106:107]
	;; [unrolled: 1-line block ×3, first 2 shown]
	s_delay_alu instid0(VALU_DEP_3) | instskip(SKIP_1) | instid1(VALU_DEP_2)
	v_fma_f64 v[134:135], v[12:13], v[134:135], v[136:137]
	v_mul_f64_e32 v[136:137], v[4:5], v[108:109]
	v_mul_f64_e32 v[134:135], v[54:55], v[134:135]
	s_delay_alu instid0(VALU_DEP_2) | instskip(NEXT) | instid1(VALU_DEP_2)
	v_mul_f64_e32 v[136:137], v[108:109], v[136:137]
	v_fma_f64 v[140:141], v[106:107], v[132:133], v[134:135]
	v_mul_f64_e32 v[134:135], v[12:13], v[110:111]
	s_delay_alu instid0(VALU_DEP_3) | instskip(SKIP_1) | instid1(VALU_DEP_3)
	v_mul_f64_e32 v[136:137], v[4:5], v[136:137]
	v_fma_f64 v[132:133], v[98:99], 2.0, v[112:113]
	v_mul_f64_e32 v[134:135], v[110:111], v[134:135]
	v_mul_f64_e32 v[110:111], v[98:99], v[110:111]
	s_delay_alu instid0(VALU_DEP_3) | instskip(NEXT) | instid1(VALU_DEP_3)
	v_mul_f64_e32 v[132:133], v[132:133], v[118:119]
	v_fma_f64 v[134:135], v[12:13], v[134:135], v[136:137]
	v_add_f64_e32 v[136:137], v[142:143], v[84:85]
	s_delay_alu instid0(VALU_DEP_2) | instskip(NEXT) | instid1(VALU_DEP_1)
	v_mul_f64_e32 v[134:135], v[98:99], v[134:135]
	v_fma_f64 v[144:145], v[118:119], v[132:133], v[134:135]
	v_add_f64_e32 v[132:133], v[138:139], v[84:85]
	s_delay_alu instid0(VALU_DEP_1) | instskip(SKIP_3) | instid1(VALU_DEP_3)
	v_fma_f64 v[134:135], 0xbfe80000, v[132:133], v[142:143]
	v_add_f64_e32 v[132:133], v[138:139], v[140:141]
	v_add_f64_e32 v[138:139], v[84:85], v[140:141]
	;; [unrolled: 1-line block ×3, first 2 shown]
	v_fma_f64 v[136:137], 0x40080000, v[136:137], v[132:133]
	v_add_f64_e32 v[132:133], v[142:143], v[144:145]
	s_delay_alu instid0(VALU_DEP_3) | instskip(SKIP_1) | instid1(VALU_DEP_1)
	v_fma_f64 v[84:85], 0xbfe80000, v[84:85], v[140:141]
	v_add3_u32 v145, v161, v169, s16
	v_ashrrev_i32_e32 v146, 31, v145
	v_add_nc_u32_e32 v176, s19, v145
	s_delay_alu instid0(VALU_DEP_2) | instskip(NEXT) | instid1(VALU_DEP_2)
	v_lshlrev_b64_e32 v[146:147], 3, v[145:146]
	v_ashrrev_i32_e32 v177, 31, v176
	s_delay_alu instid0(VALU_DEP_1) | instskip(SKIP_2) | instid1(VALU_DEP_2)
	v_lshlrev_b64_e32 v[176:177], 3, v[176:177]
	v_mul_f64_e32 v[128:129], v[136:137], v[128:129]
	v_fma_f64 v[132:133], 0x40080000, v[138:139], v[132:133]
	v_fma_f64 v[128:129], v[134:135], v[130:131], v[128:129]
	s_delay_alu instid0(VALU_DEP_1) | instskip(SKIP_2) | instid1(VALU_DEP_2)
	v_fma_f64 v[126:127], v[132:133], v[126:127], v[128:129]
	v_add3_u32 v129, v171, v169, s16
	v_add3_u32 v132, v171, v167, s16
	v_ashrrev_i32_e32 v130, 31, v129
	s_delay_alu instid0(VALU_DEP_2) | instskip(SKIP_2) | instid1(VALU_DEP_4)
	v_ashrrev_i32_e32 v133, 31, v132
	v_add_nc_u32_e32 v139, s19, v129
	v_add_nc_u32_e32 v141, s19, v132
	v_lshlrev_b64_e32 v[130:131], 3, v[129:130]
	s_delay_alu instid0(VALU_DEP_4) | instskip(NEXT) | instid1(VALU_DEP_4)
	v_lshlrev_b64_e32 v[133:134], 3, v[132:133]
	v_ashrrev_i32_e32 v140, 31, v139
	s_delay_alu instid0(VALU_DEP_4) | instskip(NEXT) | instid1(VALU_DEP_2)
	v_ashrrev_i32_e32 v142, 31, v141
	v_lshlrev_b64_e32 v[139:140], 3, v[139:140]
	s_delay_alu instid0(VALU_DEP_2)
	v_lshlrev_b64_e32 v[141:142], 3, v[141:142]
	v_fma_f64 v[80:81], v[84:85], v[80:81], v[126:127]
	v_mul_f64_e32 v[84:85], v[112:113], v[118:119]
	v_add_co_u32 v112, vcc_lo, s14, v122
	s_wait_alu 0xfffd
	v_add_co_ci_u32_e64 v113, null, s15, v123, vcc_lo
	v_lshlrev_b64_e32 v[125:126], 3, v[124:125]
	global_load_b64 v[118:119], v[112:113], off
	v_mul_f64_e32 v[80:81], s[0:1], v[80:81]
	s_mov_b32 s1, 0xbfb55555
	s_wait_loadcnt 0x0
	v_mul_f64_e32 v[112:113], v[84:85], v[118:119]
	v_add3_u32 v84, v171, v170, s16
	v_mul_f64_e32 v[110:111], v[110:111], v[118:119]
	s_delay_alu instid0(VALU_DEP_2) | instskip(NEXT) | instid1(VALU_DEP_1)
	v_ashrrev_i32_e32 v85, 31, v84
	v_lshlrev_b64_e32 v[122:123], 3, v[84:85]
	v_add_nc_u32_e32 v84, s19, v84
	s_delay_alu instid0(VALU_DEP_2) | instskip(SKIP_1) | instid1(VALU_DEP_3)
	v_add_co_u32 v122, vcc_lo, s8, v122
	s_wait_alu 0xfffd
	v_add_co_ci_u32_e64 v123, null, s9, v123, vcc_lo
	v_add_co_u32 v125, vcc_lo, s8, v125
	s_wait_alu 0xfffd
	v_add_co_ci_u32_e64 v126, null, s9, v126, vcc_lo
	global_load_b64 v[122:123], v[122:123], off
	v_add_co_u32 v130, vcc_lo, s8, v130
	global_load_b64 v[125:126], v[125:126], off
	s_wait_alu 0xfffd
	v_add_co_ci_u32_e64 v131, null, s9, v131, vcc_lo
	v_add_co_u32 v133, vcc_lo, s8, v133
	s_wait_alu 0xfffd
	v_add_co_ci_u32_e64 v134, null, s9, v134, vcc_lo
	global_load_b64 v[130:131], v[130:131], off
	v_ashrrev_i32_e32 v85, 31, v84
	global_load_b64 v[133:134], v[133:134], off
	v_lshlrev_b64_e32 v[84:85], 3, v[84:85]
	s_delay_alu instid0(VALU_DEP_1) | instskip(SKIP_1) | instid1(VALU_DEP_2)
	v_add_co_u32 v84, vcc_lo, s8, v84
	s_wait_alu 0xfffd
	v_add_co_ci_u32_e64 v85, null, s9, v85, vcc_lo
	s_wait_loadcnt 0x2
	v_add_f64_e64 v[127:128], v[122:123], -v[125:126]
	s_wait_loadcnt 0x0
	v_add_f64_e64 v[135:136], v[130:131], -v[133:134]
	s_wait_alu 0xfffe
	s_delay_alu instid0(VALU_DEP_2) | instskip(NEXT) | instid1(VALU_DEP_1)
	v_mul_f64_e32 v[127:128], s[0:1], v[127:128]
	v_fma_f64 v[127:128], v[135:136], s[2:3], v[127:128]
	global_load_b64 v[135:136], v[84:85], off
	v_add_nc_u32_e32 v84, s19, v124
	s_delay_alu instid0(VALU_DEP_1) | instskip(NEXT) | instid1(VALU_DEP_1)
	v_ashrrev_i32_e32 v85, 31, v84
	v_lshlrev_b64_e32 v[84:85], 3, v[84:85]
	s_delay_alu instid0(VALU_DEP_1) | instskip(SKIP_1) | instid1(VALU_DEP_2)
	v_add_co_u32 v84, vcc_lo, s8, v84
	s_wait_alu 0xfffd
	v_add_co_ci_u32_e64 v85, null, s9, v85, vcc_lo
	v_add_co_u32 v139, vcc_lo, s8, v139
	s_wait_alu 0xfffd
	v_add_co_ci_u32_e64 v140, null, s9, v140, vcc_lo
	global_load_b64 v[137:138], v[84:85], off
	v_add_co_u32 v141, vcc_lo, s8, v141
	s_wait_alu 0xfffd
	v_add_co_ci_u32_e64 v142, null, s9, v142, vcc_lo
	global_load_b64 v[139:140], v[139:140], off
	v_add_co_u32 v94, vcc_lo, s14, v116
	global_load_b64 v[141:142], v[141:142], off
	s_wait_alu 0xfffd
	v_add_co_ci_u32_e64 v95, null, s15, v117, vcc_lo
	v_mul_f64_e32 v[127:128], v[112:113], v[127:128]
	global_load_b64 v[94:95], v[94:95], off
	s_wait_loadcnt 0x3
	v_add_f64_e64 v[84:85], v[135:136], -v[137:138]
	s_wait_loadcnt 0x1
	v_add_f64_e64 v[143:144], v[139:140], -v[141:142]
	s_wait_loadcnt 0x0
	v_mul_f64_e32 v[86:87], v[86:87], v[94:95]
	v_mul_f64_e32 v[92:93], v[92:93], v[94:95]
	s_delay_alu instid0(VALU_DEP_4) | instskip(NEXT) | instid1(VALU_DEP_1)
	v_mul_f64_e32 v[84:85], s[0:1], v[84:85]
	v_fma_f64 v[84:85], v[143:144], s[2:3], v[84:85]
	s_delay_alu instid0(VALU_DEP_1) | instskip(SKIP_1) | instid1(VALU_DEP_1)
	v_mul_f64_e32 v[84:85], v[110:111], v[84:85]
	v_add3_u32 v110, v161, v170, s16
	v_ashrrev_i32_e32 v111, 31, v110
	s_delay_alu instid0(VALU_DEP_1) | instskip(SKIP_1) | instid1(VALU_DEP_2)
	v_lshlrev_b64_e32 v[116:117], 3, v[110:111]
	v_add_nc_u32_e32 v110, s19, v110
	v_add_co_u32 v116, vcc_lo, s8, v116
	s_wait_alu 0xfffd
	s_delay_alu instid0(VALU_DEP_3) | instskip(NEXT) | instid1(VALU_DEP_3)
	v_add_co_ci_u32_e64 v117, null, s9, v117, vcc_lo
	v_ashrrev_i32_e32 v111, 31, v110
	global_load_b64 v[116:117], v[116:117], off
	v_lshlrev_b64_e32 v[110:111], 3, v[110:111]
	v_mul_f64_e32 v[84:85], v[12:13], v[84:85]
	s_delay_alu instid0(VALU_DEP_1) | instskip(NEXT) | instid1(VALU_DEP_1)
	v_mul_f64_e32 v[84:85], v[56:57], v[84:85]
	v_fma_f64 v[84:85], v[56:57], v[127:128], v[84:85]
	v_add3_u32 v127, v161, v166, s16
	s_delay_alu instid0(VALU_DEP_1) | instskip(NEXT) | instid1(VALU_DEP_1)
	v_ashrrev_i32_e32 v128, 31, v127
	v_lshlrev_b64_e32 v[128:129], 3, v[127:128]
	s_delay_alu instid0(VALU_DEP_1) | instskip(SKIP_1) | instid1(VALU_DEP_2)
	v_add_co_u32 v128, vcc_lo, s8, v128
	s_wait_alu 0xfffd
	v_add_co_ci_u32_e64 v129, null, s9, v129, vcc_lo
	v_add_co_u32 v146, vcc_lo, s8, v146
	s_wait_alu 0xfffd
	v_add_co_ci_u32_e64 v147, null, s9, v147, vcc_lo
	global_load_b64 v[128:129], v[128:129], off
	v_add_co_u32 v149, vcc_lo, s8, v149
	s_wait_alu 0xfffd
	v_add_co_ci_u32_e64 v150, null, s9, v150, vcc_lo
	global_load_b64 v[146:147], v[146:147], off
	v_add_co_u32 v110, vcc_lo, s8, v110
	global_load_b64 v[149:150], v[149:150], off
	s_wait_alu 0xfffd
	v_add_co_ci_u32_e64 v111, null, s9, v111, vcc_lo
	global_load_b64 v[110:111], v[110:111], off
	s_wait_loadcnt 0x3
	v_add_f64_e64 v[143:144], v[116:117], -v[128:129]
	s_wait_loadcnt 0x1
	v_add_f64_e64 v[172:173], v[146:147], -v[149:150]
	s_delay_alu instid0(VALU_DEP_2) | instskip(NEXT) | instid1(VALU_DEP_1)
	v_mul_f64_e32 v[143:144], s[0:1], v[143:144]
	v_fma_f64 v[143:144], v[172:173], s[2:3], v[143:144]
	v_add_nc_u32_e32 v172, s19, v127
	s_delay_alu instid0(VALU_DEP_1) | instskip(NEXT) | instid1(VALU_DEP_1)
	v_ashrrev_i32_e32 v173, 31, v172
	v_lshlrev_b64_e32 v[172:173], 3, v[172:173]
	s_delay_alu instid0(VALU_DEP_1) | instskip(SKIP_1) | instid1(VALU_DEP_2)
	v_add_co_u32 v172, vcc_lo, s8, v172
	s_wait_alu 0xfffd
	v_add_co_ci_u32_e64 v173, null, s9, v173, vcc_lo
	v_add_co_u32 v176, vcc_lo, s8, v176
	s_wait_alu 0xfffd
	v_add_co_ci_u32_e64 v177, null, s9, v177, vcc_lo
	global_load_b64 v[172:173], v[172:173], off
	v_add_co_u32 v178, vcc_lo, s8, v178
	s_wait_alu 0xfffd
	v_add_co_ci_u32_e64 v179, null, s9, v179, vcc_lo
	s_clause 0x1
	global_load_b64 v[176:177], v[176:177], off
	global_load_b64 v[178:179], v[178:179], off
	v_mul_f64_e32 v[143:144], v[92:93], v[143:144]
	s_wait_loadcnt 0x2
	v_add_f64_e64 v[174:175], v[110:111], -v[172:173]
	s_wait_loadcnt 0x0
	v_add_f64_e64 v[180:181], v[176:177], -v[178:179]
	s_delay_alu instid0(VALU_DEP_2) | instskip(NEXT) | instid1(VALU_DEP_1)
	v_mul_f64_e32 v[174:175], s[0:1], v[174:175]
	v_fma_f64 v[174:175], v[180:181], s[2:3], v[174:175]
	s_delay_alu instid0(VALU_DEP_1) | instskip(SKIP_2) | instid1(VALU_DEP_2)
	v_mul_f64_e32 v[86:87], v[86:87], v[174:175]
	v_add3_u32 v174, v162, v169, s16
	v_add3_u32 v169, v160, v169, s16
	v_ashrrev_i32_e32 v175, 31, v174
	s_delay_alu instid0(VALU_DEP_1) | instskip(SKIP_1) | instid1(VALU_DEP_1)
	v_lshlrev_b64_e32 v[180:181], 3, v[174:175]
	v_mul_f64_e32 v[86:87], v[12:13], v[86:87]
	v_mul_f64_e32 v[86:87], v[56:57], v[86:87]
	s_delay_alu instid0(VALU_DEP_1) | instskip(NEXT) | instid1(VALU_DEP_1)
	v_fma_f64 v[86:87], v[56:57], v[143:144], v[86:87]
	v_add_f64_e64 v[84:85], v[84:85], -v[86:87]
	s_delay_alu instid0(VALU_DEP_1) | instskip(NEXT) | instid1(VALU_DEP_1)
	v_mul_f64_e32 v[84:85], s[0:1], v[84:85]
	v_fma_f64 v[143:144], v[76:77], v[80:81], v[84:85]
	v_add_co_u32 v80, vcc_lo, s14, v120
	s_wait_alu 0xfffd
	v_add_co_ci_u32_e64 v81, null, s15, v121, vcc_lo
	v_mul_f64_e32 v[76:77], v[100:101], v[106:107]
	global_load_b64 v[86:87], v[80:81], off
	s_wait_loadcnt 0x0
	v_mul_f64_e32 v[80:81], v[76:77], v[86:87]
	v_add3_u32 v76, v162, v170, s16
	v_mul_f64_e32 v[102:103], v[102:103], v[86:87]
	s_delay_alu instid0(VALU_DEP_2) | instskip(NEXT) | instid1(VALU_DEP_1)
	v_ashrrev_i32_e32 v77, 31, v76
	v_lshlrev_b64_e32 v[84:85], 3, v[76:77]
	v_add_nc_u32_e32 v76, s19, v76
	s_delay_alu instid0(VALU_DEP_2) | instskip(SKIP_1) | instid1(VALU_DEP_3)
	v_add_co_u32 v84, vcc_lo, s8, v84
	s_wait_alu 0xfffd
	v_add_co_ci_u32_e64 v85, null, s9, v85, vcc_lo
	s_delay_alu instid0(VALU_DEP_3) | instskip(SKIP_3) | instid1(VALU_DEP_2)
	v_ashrrev_i32_e32 v77, 31, v76
	global_load_b64 v[100:101], v[84:85], off
	v_add3_u32 v84, v162, v166, s16
	v_lshlrev_b64_e32 v[76:77], 3, v[76:77]
	v_ashrrev_i32_e32 v85, 31, v84
	s_delay_alu instid0(VALU_DEP_1) | instskip(NEXT) | instid1(VALU_DEP_1)
	v_lshlrev_b64_e32 v[106:107], 3, v[84:85]
	v_add_co_u32 v106, vcc_lo, s8, v106
	s_wait_alu 0xfffd
	s_delay_alu instid0(VALU_DEP_2)
	v_add_co_ci_u32_e64 v107, null, s9, v107, vcc_lo
	v_add_co_u32 v180, vcc_lo, s8, v180
	s_wait_alu 0xfffd
	v_add_co_ci_u32_e64 v181, null, s9, v181, vcc_lo
	global_load_b64 v[106:107], v[106:107], off
	v_add_co_u32 v183, vcc_lo, s8, v183
	s_wait_alu 0xfffd
	v_add_co_ci_u32_e64 v184, null, s9, v184, vcc_lo
	global_load_b64 v[180:181], v[180:181], off
	v_add_co_u32 v76, vcc_lo, s8, v76
	global_load_b64 v[183:184], v[183:184], off
	s_wait_alu 0xfffd
	v_add_co_ci_u32_e64 v77, null, s9, v77, vcc_lo
	s_wait_loadcnt 0x2
	v_add_f64_e64 v[120:121], v[100:101], -v[106:107]
	s_wait_loadcnt 0x0
	v_add_f64_e64 v[185:186], v[180:181], -v[183:184]
	s_delay_alu instid0(VALU_DEP_2) | instskip(NEXT) | instid1(VALU_DEP_1)
	v_mul_f64_e32 v[120:121], s[0:1], v[120:121]
	v_fma_f64 v[120:121], v[185:186], s[2:3], v[120:121]
	global_load_b64 v[185:186], v[76:77], off
	v_add_nc_u32_e32 v76, s19, v84
	v_add_nc_u32_e32 v84, s19, v174
	s_delay_alu instid0(VALU_DEP_2) | instskip(NEXT) | instid1(VALU_DEP_2)
	v_ashrrev_i32_e32 v77, 31, v76
	v_ashrrev_i32_e32 v85, 31, v84
	s_delay_alu instid0(VALU_DEP_2) | instskip(NEXT) | instid1(VALU_DEP_2)
	v_lshlrev_b64_e32 v[76:77], 3, v[76:77]
	v_lshlrev_b64_e32 v[84:85], 3, v[84:85]
	s_delay_alu instid0(VALU_DEP_2) | instskip(SKIP_1) | instid1(VALU_DEP_3)
	v_add_co_u32 v76, vcc_lo, s8, v76
	s_wait_alu 0xfffd
	v_add_co_ci_u32_e64 v77, null, s9, v77, vcc_lo
	s_delay_alu instid0(VALU_DEP_3)
	v_add_co_u32 v84, vcc_lo, s8, v84
	s_wait_alu 0xfffd
	v_add_co_ci_u32_e64 v85, null, s9, v85, vcc_lo
	s_clause 0x1
	global_load_b64 v[187:188], v[76:77], off
	global_load_b64 v[174:175], v[84:85], off
	v_add_nc_u32_e32 v84, s19, v182
	s_delay_alu instid0(VALU_DEP_1) | instskip(SKIP_1) | instid1(VALU_DEP_2)
	v_ashrrev_i32_e32 v85, 31, v84
	v_mul_f64_e32 v[120:121], v[80:81], v[120:121]
	v_lshlrev_b64_e32 v[84:85], 3, v[84:85]
	s_delay_alu instid0(VALU_DEP_1) | instskip(SKIP_1) | instid1(VALU_DEP_2)
	v_add_co_u32 v84, vcc_lo, s8, v84
	s_wait_alu 0xfffd
	v_add_co_ci_u32_e64 v85, null, s9, v85, vcc_lo
	global_load_b64 v[189:190], v[84:85], off
	s_wait_loadcnt 0x2
	v_add_f64_e64 v[76:77], v[185:186], -v[187:188]
	s_wait_loadcnt 0x0
	v_add_f64_e64 v[84:85], v[174:175], -v[189:190]
	s_delay_alu instid0(VALU_DEP_2) | instskip(NEXT) | instid1(VALU_DEP_1)
	v_mul_f64_e32 v[76:77], s[0:1], v[76:77]
	v_fma_f64 v[76:77], v[84:85], s[2:3], v[76:77]
	v_add_co_u32 v84, vcc_lo, s14, v114
	v_add3_u32 v114, v160, v166, s16
	s_wait_alu 0xfffd
	v_add_co_ci_u32_e64 v85, null, s15, v115, vcc_lo
	v_add3_u32 v166, v160, v167, s16
	s_delay_alu instid0(VALU_DEP_3) | instskip(SKIP_2) | instid1(VALU_DEP_1)
	v_ashrrev_i32_e32 v115, 31, v114
	global_load_b64 v[84:85], v[84:85], off
	v_ashrrev_i32_e32 v167, 31, v166
	v_lshlrev_b64_e32 v[0:1], 3, v[166:167]
	v_add_nc_u32_e32 v166, s19, v166
	s_delay_alu instid0(VALU_DEP_1) | instskip(NEXT) | instid1(VALU_DEP_1)
	v_ashrrev_i32_e32 v167, 31, v166
	v_lshlrev_b64_e32 v[166:167], 3, v[166:167]
	v_mul_f64_e32 v[76:77], v[102:103], v[76:77]
	s_delay_alu instid0(VALU_DEP_1) | instskip(NEXT) | instid1(VALU_DEP_1)
	v_mul_f64_e32 v[76:77], v[12:13], v[76:77]
	v_mul_f64_e32 v[76:77], v[56:57], v[76:77]
	s_delay_alu instid0(VALU_DEP_1) | instskip(SKIP_4) | instid1(VALU_DEP_3)
	v_fma_f64 v[102:103], v[56:57], v[120:121], v[76:77]
	v_mul_f64_e32 v[76:77], v[88:89], v[96:97]
	v_add3_u32 v88, v160, v170, s16
	v_lshlrev_b64_e32 v[120:121], 3, v[114:115]
	v_ashrrev_i32_e32 v170, 31, v169
	v_ashrrev_i32_e32 v89, 31, v88
	s_delay_alu instid0(VALU_DEP_2) | instskip(SKIP_1) | instid1(VALU_DEP_3)
	v_lshlrev_b64_e32 v[151:152], 3, v[169:170]
	v_add_nc_u32_e32 v169, s19, v169
	v_lshlrev_b64_e32 v[96:97], 3, v[88:89]
	v_add_nc_u32_e32 v88, s19, v88
	s_delay_alu instid0(VALU_DEP_3) | instskip(NEXT) | instid1(VALU_DEP_3)
	v_ashrrev_i32_e32 v170, 31, v169
	v_add_co_u32 v96, vcc_lo, s8, v96
	s_wait_alu 0xfffd
	s_delay_alu instid0(VALU_DEP_4)
	v_add_co_ci_u32_e64 v97, null, s9, v97, vcc_lo
	v_add_co_u32 v120, vcc_lo, s8, v120
	s_wait_alu 0xfffd
	v_add_co_ci_u32_e64 v121, null, s9, v121, vcc_lo
	global_load_b64 v[96:97], v[96:97], off
	v_add_co_u32 v151, vcc_lo, s8, v151
	global_load_b64 v[120:121], v[120:121], off
	s_wait_alu 0xfffd
	v_add_co_ci_u32_e64 v152, null, s9, v152, vcc_lo
	v_add_co_u32 v0, vcc_lo, s8, v0
	s_wait_alu 0xfffd
	v_add_co_ci_u32_e64 v1, null, s9, v1, vcc_lo
	global_load_b64 v[151:152], v[151:152], off
	v_ashrrev_i32_e32 v89, 31, v88
	v_lshlrev_b64_e32 v[169:170], 3, v[169:170]
	global_load_b64 v[0:1], v[0:1], off
	v_lshlrev_b64_e32 v[88:89], 3, v[88:89]
	s_delay_alu instid0(VALU_DEP_1) | instskip(SKIP_1) | instid1(VALU_DEP_2)
	v_add_co_u32 v88, vcc_lo, s8, v88
	s_wait_alu 0xfffd
	v_add_co_ci_u32_e64 v89, null, s9, v89, vcc_lo
	global_load_b64 v[88:89], v[88:89], off
	s_wait_loadcnt 0x5
	v_mul_f64_e32 v[76:77], v[76:77], v[84:85]
	s_wait_loadcnt 0x3
	v_add_f64_e64 v[16:17], v[96:97], -v[120:121]
	v_add_f64_e64 v[96:97], v[100:101], -v[96:97]
	v_add3_u32 v100, v20, v162, s17
	s_delay_alu instid0(VALU_DEP_1) | instskip(SKIP_4) | instid1(VALU_DEP_1)
	v_ashrrev_i32_e32 v101, 31, v100
	s_wait_loadcnt 0x1
	v_add_f64_e64 v[48:49], v[151:152], -v[0:1]
	v_add_f64_e64 v[0:1], v[183:184], -v[0:1]
	v_mul_f64_e32 v[16:17], s[0:1], v[16:17]
	v_fma_f64 v[16:17], v[48:49], s[2:3], v[16:17]
	v_mul_f64_e32 v[48:49], v[50:51], v[90:91]
	v_add_nc_u32_e32 v90, s19, v114
	s_delay_alu instid0(VALU_DEP_1) | instskip(NEXT) | instid1(VALU_DEP_1)
	v_ashrrev_i32_e32 v91, 31, v90
	v_lshlrev_b64_e32 v[90:91], 3, v[90:91]
	s_delay_alu instid0(VALU_DEP_1) | instskip(SKIP_1) | instid1(VALU_DEP_2)
	v_add_co_u32 v90, vcc_lo, s8, v90
	s_wait_alu 0xfffd
	v_add_co_ci_u32_e64 v91, null, s9, v91, vcc_lo
	v_add_co_u32 v169, vcc_lo, s8, v169
	s_wait_alu 0xfffd
	v_add_co_ci_u32_e64 v170, null, s9, v170, vcc_lo
	global_load_b64 v[90:91], v[90:91], off
	v_add_co_u32 v166, vcc_lo, s8, v166
	s_wait_alu 0xfffd
	v_add_co_ci_u32_e64 v167, null, s9, v167, vcc_lo
	s_clause 0x1
	global_load_b64 v[169:170], v[169:170], off
	global_load_b64 v[166:167], v[166:167], off
	v_mul_f64_e32 v[16:17], v[76:77], v[16:17]
	v_mul_f64_e32 v[48:49], v[48:49], v[84:85]
	s_wait_loadcnt 0x2
	v_add_f64_e64 v[114:115], v[88:89], -v[90:91]
	s_wait_loadcnt 0x0
	v_add_f64_e64 v[24:25], v[169:170], -v[166:167]
	s_delay_alu instid0(VALU_DEP_2) | instskip(NEXT) | instid1(VALU_DEP_1)
	v_mul_f64_e32 v[114:115], s[0:1], v[114:115]
	v_fma_f64 v[24:25], v[24:25], s[2:3], v[114:115]
	s_delay_alu instid0(VALU_DEP_1) | instskip(SKIP_1) | instid1(VALU_DEP_2)
	v_mul_f64_e32 v[24:25], v[48:49], v[24:25]
	v_add_f64_e64 v[48:49], v[122:123], -v[116:117]
	v_mul_f64_e32 v[12:13], v[12:13], v[24:25]
	s_delay_alu instid0(VALU_DEP_2) | instskip(NEXT) | instid1(VALU_DEP_2)
	v_mul_f64_e32 v[48:49], s[0:1], v[48:49]
	v_mul_f64_e32 v[12:13], v[56:57], v[12:13]
	s_delay_alu instid0(VALU_DEP_2) | instskip(NEXT) | instid1(VALU_DEP_2)
	v_fma_f64 v[48:49], v[96:97], s[2:3], v[48:49]
	v_fma_f64 v[12:13], v[56:57], v[16:17], v[12:13]
	v_add_nc_u32_e32 v16, s18, v168
	s_delay_alu instid0(VALU_DEP_1) | instskip(NEXT) | instid1(VALU_DEP_1)
	v_ashrrev_i32_e32 v17, 31, v16
	v_lshlrev_b64_e32 v[24:25], 3, v[16:17]
	v_subrev_nc_u32_e32 v16, s19, v16
	s_delay_alu instid0(VALU_DEP_1) | instskip(NEXT) | instid1(VALU_DEP_3)
	v_ashrrev_i32_e32 v17, 31, v16
	v_add_co_u32 v24, vcc_lo, s14, v24
	s_wait_alu 0xfffd
	s_delay_alu instid0(VALU_DEP_4) | instskip(NEXT) | instid1(VALU_DEP_3)
	v_add_co_ci_u32_e64 v25, null, s15, v25, vcc_lo
	v_lshlrev_b64_e32 v[16:17], 3, v[16:17]
	global_load_b64 v[24:25], v[24:25], off
	v_add_co_u32 v16, vcc_lo, s14, v16
	s_wait_alu 0xfffd
	v_add_co_ci_u32_e64 v17, null, s15, v17, vcc_lo
	global_load_b64 v[16:17], v[16:17], off
	v_add_f64_e64 v[12:13], v[102:103], -v[12:13]
	s_delay_alu instid0(VALU_DEP_1)
	v_fma_f64 v[12:13], v[12:13], s[2:3], v[143:144]
	s_wait_loadcnt 0x1
	v_mul_f64_e32 v[24:25], v[72:73], v[24:25]
	s_wait_loadcnt 0x0
	v_mul_f64_e32 v[16:17], v[72:73], v[16:17]
	v_add_f64_e64 v[72:73], v[135:136], -v[110:111]
	s_delay_alu instid0(VALU_DEP_3) | instskip(NEXT) | instid1(VALU_DEP_3)
	v_mul_f64_e32 v[24:25], v[74:75], v[24:25]
	v_mul_f64_e32 v[16:17], v[74:75], v[16:17]
	s_delay_alu instid0(VALU_DEP_3) | instskip(SKIP_1) | instid1(VALU_DEP_1)
	v_mul_f64_e32 v[72:73], s[0:1], v[72:73]
	v_add_f64_e64 v[74:75], v[185:186], -v[88:89]
	v_fma_f64 v[72:73], v[74:75], s[2:3], v[72:73]
	s_delay_alu instid0(VALU_DEP_1) | instskip(SKIP_1) | instid1(VALU_DEP_2)
	v_mul_f64_e32 v[16:17], v[72:73], v[16:17]
	v_add_f64_e64 v[72:73], v[106:107], -v[120:121]
	v_mul_f64_e32 v[16:17], v[52:53], v[16:17]
	v_add_f64_e64 v[52:53], v[125:126], -v[128:129]
	s_delay_alu instid0(VALU_DEP_2) | instskip(SKIP_1) | instid1(VALU_DEP_3)
	v_fma_f64 v[16:17], v[48:49], v[24:25], v[16:17]
	v_add_nc_u32_e32 v24, s18, v164
	v_mul_f64_e32 v[52:53], s[0:1], v[52:53]
	s_delay_alu instid0(VALU_DEP_2) | instskip(NEXT) | instid1(VALU_DEP_1)
	v_ashrrev_i32_e32 v25, 31, v24
	v_lshlrev_b64_e32 v[48:49], 3, v[24:25]
	v_subrev_nc_u32_e32 v24, s19, v24
	s_delay_alu instid0(VALU_DEP_1) | instskip(NEXT) | instid1(VALU_DEP_3)
	v_ashrrev_i32_e32 v25, 31, v24
	v_add_co_u32 v48, vcc_lo, s14, v48
	s_wait_alu 0xfffd
	s_delay_alu instid0(VALU_DEP_4) | instskip(NEXT) | instid1(VALU_DEP_3)
	v_add_co_ci_u32_e64 v49, null, s15, v49, vcc_lo
	v_lshlrev_b64_e32 v[24:25], 3, v[24:25]
	global_load_b64 v[48:49], v[48:49], off
	v_add_co_u32 v24, vcc_lo, s14, v24
	s_wait_alu 0xfffd
	v_add_co_ci_u32_e64 v25, null, s15, v25, vcc_lo
	global_load_b64 v[24:25], v[24:25], off
	v_fma_f64 v[52:53], v[72:73], s[2:3], v[52:53]
	s_wait_loadcnt 0x1
	v_mul_f64_e32 v[48:49], v[62:63], v[48:49]
	s_wait_loadcnt 0x0
	v_mul_f64_e32 v[24:25], v[62:63], v[24:25]
	v_add_f64_e64 v[62:63], v[137:138], -v[172:173]
	s_delay_alu instid0(VALU_DEP_3) | instskip(NEXT) | instid1(VALU_DEP_3)
	v_mul_f64_e32 v[48:49], v[64:65], v[48:49]
	v_mul_f64_e32 v[24:25], v[64:65], v[24:25]
	s_delay_alu instid0(VALU_DEP_3) | instskip(SKIP_1) | instid1(VALU_DEP_1)
	v_mul_f64_e32 v[62:63], s[0:1], v[62:63]
	v_add_f64_e64 v[64:65], v[187:188], -v[90:91]
	v_fma_f64 v[62:63], v[64:65], s[2:3], v[62:63]
	s_delay_alu instid0(VALU_DEP_1) | instskip(SKIP_1) | instid1(VALU_DEP_2)
	v_mul_f64_e32 v[24:25], v[62:63], v[24:25]
	v_add_f64_e64 v[62:63], v[174:175], -v[169:170]
	v_mul_f64_e32 v[8:9], v[8:9], v[24:25]
	s_delay_alu instid0(VALU_DEP_1) | instskip(SKIP_2) | instid1(VALU_DEP_3)
	v_fma_f64 v[8:9], v[52:53], v[48:49], v[8:9]
	v_add_f64_e64 v[48:49], v[130:131], -v[146:147]
	v_add_f64_e64 v[52:53], v[180:181], -v[151:152]
	;; [unrolled: 1-line block ×3, first 2 shown]
	v_add_nc_u32_e32 v16, s18, v165
	s_delay_alu instid0(VALU_DEP_4) | instskip(NEXT) | instid1(VALU_DEP_2)
	v_mul_f64_e32 v[48:49], s[0:1], v[48:49]
	v_ashrrev_i32_e32 v17, 31, v16
	s_delay_alu instid0(VALU_DEP_1) | instskip(SKIP_1) | instid1(VALU_DEP_1)
	v_lshlrev_b64_e32 v[24:25], 3, v[16:17]
	v_subrev_nc_u32_e32 v16, s19, v16
	v_ashrrev_i32_e32 v17, 31, v16
	s_delay_alu instid0(VALU_DEP_3) | instskip(SKIP_1) | instid1(VALU_DEP_4)
	v_add_co_u32 v24, vcc_lo, s14, v24
	s_wait_alu 0xfffd
	v_add_co_ci_u32_e64 v25, null, s15, v25, vcc_lo
	s_delay_alu instid0(VALU_DEP_3)
	v_lshlrev_b64_e32 v[16:17], 3, v[16:17]
	global_load_b64 v[24:25], v[24:25], off
	v_add_co_u32 v16, vcc_lo, s14, v16
	s_wait_alu 0xfffd
	v_add_co_ci_u32_e64 v17, null, s15, v17, vcc_lo
	global_load_b64 v[16:17], v[16:17], off
	v_mul_f64_e32 v[8:9], s[0:1], v[8:9]
	v_fma_f64 v[48:49], v[52:53], s[2:3], v[48:49]
	v_add_f64_e64 v[52:53], v[139:140], -v[176:177]
	s_delay_alu instid0(VALU_DEP_1) | instskip(NEXT) | instid1(VALU_DEP_1)
	v_mul_f64_e32 v[52:53], s[0:1], v[52:53]
	v_fma_f64 v[52:53], v[62:63], s[2:3], v[52:53]
	s_wait_loadcnt 0x1
	v_mul_f64_e32 v[24:25], v[66:67], v[24:25]
	s_wait_loadcnt 0x0
	v_mul_f64_e32 v[16:17], v[66:67], v[16:17]
	s_delay_alu instid0(VALU_DEP_2) | instskip(NEXT) | instid1(VALU_DEP_2)
	v_mul_f64_e32 v[24:25], v[68:69], v[24:25]
	v_mul_f64_e32 v[16:17], v[68:69], v[16:17]
	v_add3_u32 v68, v159, v161, s17
	s_delay_alu instid0(VALU_DEP_1) | instskip(NEXT) | instid1(VALU_DEP_3)
	v_ashrrev_i32_e32 v69, 31, v68
	v_mul_f64_e32 v[16:17], v[52:53], v[16:17]
	v_add_f64_e64 v[52:53], v[189:190], -v[166:167]
	s_delay_alu instid0(VALU_DEP_2) | instskip(SKIP_1) | instid1(VALU_DEP_1)
	v_mul_f64_e32 v[14:15], v[14:15], v[16:17]
	v_add_nc_u32_e32 v16, s18, v163
	v_ashrrev_i32_e32 v17, 31, v16
	s_delay_alu instid0(VALU_DEP_3) | instskip(NEXT) | instid1(VALU_DEP_2)
	v_fma_f64 v[14:15], v[48:49], v[24:25], v[14:15]
	v_lshlrev_b64_e32 v[24:25], 3, v[16:17]
	v_subrev_nc_u32_e32 v16, s19, v16
	v_add_f64_e64 v[48:49], v[133:134], -v[149:150]
	s_delay_alu instid0(VALU_DEP_2) | instskip(NEXT) | instid1(VALU_DEP_4)
	v_ashrrev_i32_e32 v17, 31, v16
	v_add_co_u32 v24, vcc_lo, s14, v24
	s_wait_alu 0xfffd
	v_add_co_ci_u32_e64 v25, null, s15, v25, vcc_lo
	s_delay_alu instid0(VALU_DEP_3)
	v_lshlrev_b64_e32 v[16:17], 3, v[16:17]
	global_load_b64 v[24:25], v[24:25], off
	v_add_co_u32 v16, vcc_lo, s14, v16
	s_wait_alu 0xfffd
	v_add_co_ci_u32_e64 v17, null, s15, v17, vcc_lo
	global_load_b64 v[16:17], v[16:17], off
	v_mul_f64_e32 v[48:49], s[0:1], v[48:49]
	s_delay_alu instid0(VALU_DEP_1) | instskip(SKIP_1) | instid1(VALU_DEP_1)
	v_fma_f64 v[0:1], v[0:1], s[2:3], v[48:49]
	v_add_f64_e64 v[48:49], v[141:142], -v[178:179]
	v_mul_f64_e32 v[48:49], s[0:1], v[48:49]
	s_delay_alu instid0(VALU_DEP_1) | instskip(SKIP_4) | instid1(VALU_DEP_2)
	v_fma_f64 v[48:49], v[52:53], s[2:3], v[48:49]
	s_wait_loadcnt 0x1
	v_mul_f64_e32 v[24:25], v[58:59], v[24:25]
	s_wait_loadcnt 0x0
	v_mul_f64_e32 v[16:17], v[58:59], v[16:17]
	v_mul_f64_e32 v[24:25], v[60:61], v[24:25]
	s_delay_alu instid0(VALU_DEP_2) | instskip(NEXT) | instid1(VALU_DEP_1)
	v_mul_f64_e32 v[16:17], v[60:61], v[16:17]
	v_mul_f64_e32 v[16:17], v[48:49], v[16:17]
	s_delay_alu instid0(VALU_DEP_1) | instskip(SKIP_1) | instid1(VALU_DEP_1)
	v_mul_f64_e32 v[10:11], v[10:11], v[16:17]
	v_add3_u32 v16, v158, v171, s17
	v_ashrrev_i32_e32 v17, 31, v16
	s_delay_alu instid0(VALU_DEP_3) | instskip(SKIP_1) | instid1(VALU_DEP_1)
	v_fma_f64 v[0:1], v[0:1], v[24:25], v[10:11]
	v_add3_u32 v24, v20, v171, s17
	v_ashrrev_i32_e32 v25, 31, v24
	s_delay_alu instid0(VALU_DEP_3) | instskip(NEXT) | instid1(VALU_DEP_1)
	v_add_f64_e64 v[0:1], v[14:15], -v[0:1]
	v_fma_f64 v[0:1], v[0:1], s[2:3], v[8:9]
	v_add3_u32 v8, v159, v171, s17
	s_delay_alu instid0(VALU_DEP_1) | instskip(NEXT) | instid1(VALU_DEP_1)
	v_ashrrev_i32_e32 v9, 31, v8
	v_lshlrev_b64_e32 v[9:10], 3, v[8:9]
	s_delay_alu instid0(VALU_DEP_1) | instskip(SKIP_1) | instid1(VALU_DEP_2)
	v_add_co_u32 v9, vcc_lo, s8, v9
	s_wait_alu 0xfffd
	v_add_co_ci_u32_e64 v10, null, s9, v10, vcc_lo
	global_load_b64 v[58:59], v[9:10], off
	v_add3_u32 v9, v157, v171, s17
	s_delay_alu instid0(VALU_DEP_1) | instskip(NEXT) | instid1(VALU_DEP_1)
	v_ashrrev_i32_e32 v10, 31, v9
	v_lshlrev_b64_e32 v[10:11], 3, v[9:10]
	v_fma_f64 v[64:65], v[56:57], v[0:1], v[12:13]
	v_mul_f64_e32 v[0:1], v[98:99], v[108:109]
	s_delay_alu instid0(VALU_DEP_3) | instskip(SKIP_1) | instid1(VALU_DEP_4)
	v_add_co_u32 v10, vcc_lo, s8, v10
	s_wait_alu 0xfffd
	v_add_co_ci_u32_e64 v11, null, s9, v11, vcc_lo
	global_load_b64 v[56:57], v[10:11], off
	v_mul_f64_e32 v[0:1], v[0:1], v[118:119]
	s_wait_loadcnt 0x0
	v_add_f64_e64 v[10:11], v[58:59], -v[56:57]
	s_delay_alu instid0(VALU_DEP_1) | instskip(SKIP_1) | instid1(VALU_DEP_1)
	v_mul_f64_e32 v[14:15], s[0:1], v[10:11]
	v_lshlrev_b64_e32 v[10:11], 3, v[16:17]
	v_add_co_u32 v10, vcc_lo, s8, v10
	s_wait_alu 0xfffd
	s_delay_alu instid0(VALU_DEP_2) | instskip(SKIP_2) | instid1(VALU_DEP_1)
	v_add_co_ci_u32_e64 v11, null, s9, v11, vcc_lo
	global_load_b64 v[12:13], v[10:11], off
	v_lshlrev_b64_e32 v[10:11], 3, v[24:25]
	v_add_co_u32 v10, vcc_lo, s8, v10
	s_wait_alu 0xfffd
	s_delay_alu instid0(VALU_DEP_2) | instskip(SKIP_3) | instid1(VALU_DEP_1)
	v_add_co_ci_u32_e64 v11, null, s9, v11, vcc_lo
	global_load_b64 v[10:11], v[10:11], off
	s_wait_loadcnt 0x0
	v_add_f64_e64 v[48:49], v[12:13], -v[10:11]
	v_fma_f64 v[14:15], v[48:49], s[2:3], v[14:15]
	s_delay_alu instid0(VALU_DEP_1) | instskip(SKIP_2) | instid1(VALU_DEP_2)
	v_mul_f64_e32 v[0:1], v[0:1], v[14:15]
	v_subrev_nc_u32_e32 v14, s16, v8
	v_subrev_nc_u32_e32 v8, s16, v9
	v_ashrrev_i32_e32 v15, 31, v14
	s_delay_alu instid0(VALU_DEP_2) | instskip(NEXT) | instid1(VALU_DEP_2)
	v_ashrrev_i32_e32 v9, 31, v8
	v_lshlrev_b64_e32 v[14:15], 3, v[14:15]
	s_delay_alu instid0(VALU_DEP_2) | instskip(NEXT) | instid1(VALU_DEP_2)
	v_lshlrev_b64_e32 v[8:9], 3, v[8:9]
	v_add_co_u32 v14, vcc_lo, s8, v14
	s_wait_alu 0xfffd
	s_delay_alu instid0(VALU_DEP_3) | instskip(NEXT) | instid1(VALU_DEP_3)
	v_add_co_ci_u32_e64 v15, null, s9, v15, vcc_lo
	v_add_co_u32 v8, vcc_lo, s8, v8
	s_wait_alu 0xfffd
	v_add_co_ci_u32_e64 v9, null, s9, v9, vcc_lo
	s_clause 0x1
	global_load_b64 v[60:61], v[14:15], off
	global_load_b64 v[52:53], v[8:9], off
	v_mul_f64_e32 v[0:1], v[4:5], v[0:1]
	s_wait_loadcnt 0x0
	v_add_f64_e64 v[8:9], v[60:61], -v[52:53]
	s_delay_alu instid0(VALU_DEP_1) | instskip(SKIP_1) | instid1(VALU_DEP_1)
	v_mul_f64_e32 v[48:49], s[0:1], v[8:9]
	v_subrev_nc_u32_e32 v8, s16, v16
	v_ashrrev_i32_e32 v9, 31, v8
	s_delay_alu instid0(VALU_DEP_1) | instskip(NEXT) | instid1(VALU_DEP_1)
	v_lshlrev_b64_e32 v[8:9], 3, v[8:9]
	v_add_co_u32 v8, vcc_lo, s8, v8
	s_wait_alu 0xfffd
	s_delay_alu instid0(VALU_DEP_2) | instskip(SKIP_3) | instid1(VALU_DEP_2)
	v_add_co_ci_u32_e64 v9, null, s9, v9, vcc_lo
	global_load_b64 v[14:15], v[8:9], off
	v_subrev_nc_u32_e32 v8, s16, v24
	v_add3_u32 v24, v158, v161, s17
	v_ashrrev_i32_e32 v9, 31, v8
	s_delay_alu instid0(VALU_DEP_2) | instskip(NEXT) | instid1(VALU_DEP_2)
	v_ashrrev_i32_e32 v25, 31, v24
	v_lshlrev_b64_e32 v[8:9], 3, v[8:9]
	s_delay_alu instid0(VALU_DEP_1) | instskip(SKIP_1) | instid1(VALU_DEP_2)
	v_add_co_u32 v8, vcc_lo, s8, v8
	s_wait_alu 0xfffd
	v_add_co_ci_u32_e64 v9, null, s9, v9, vcc_lo
	global_load_b64 v[8:9], v[8:9], off
	s_wait_loadcnt 0x0
	v_add_f64_e64 v[16:17], v[14:15], -v[8:9]
	s_delay_alu instid0(VALU_DEP_1) | instskip(SKIP_2) | instid1(VALU_DEP_1)
	v_fma_f64 v[16:17], v[16:17], s[2:3], v[48:49]
	v_lshlrev_b64_e32 v[48:49], 3, v[24:25]
	v_subrev_nc_u32_e32 v24, s16, v24
	v_ashrrev_i32_e32 v25, 31, v24
	s_delay_alu instid0(VALU_DEP_1) | instskip(SKIP_1) | instid1(VALU_DEP_1)
	v_lshlrev_b64_e32 v[24:25], 3, v[24:25]
	v_mul_f64_e32 v[16:17], v[112:113], v[16:17]
	v_mul_f64_e32 v[16:17], v[18:19], v[16:17]
	s_delay_alu instid0(VALU_DEP_1) | instskip(SKIP_1) | instid1(VALU_DEP_1)
	v_fma_f64 v[66:67], v[18:19], v[0:1], v[16:17]
	v_mul_f64_e32 v[0:1], v[82:83], v[104:105]
	v_mul_f64_e32 v[72:73], v[0:1], v[94:95]
	v_lshlrev_b64_e32 v[0:1], 3, v[68:69]
	v_subrev_nc_u32_e32 v68, s16, v68
	s_delay_alu instid0(VALU_DEP_2) | instskip(SKIP_1) | instid1(VALU_DEP_3)
	v_add_co_u32 v0, vcc_lo, s8, v0
	s_wait_alu 0xfffd
	v_add_co_ci_u32_e64 v1, null, s9, v1, vcc_lo
	s_delay_alu instid0(VALU_DEP_3) | instskip(SKIP_3) | instid1(VALU_DEP_2)
	v_ashrrev_i32_e32 v69, 31, v68
	global_load_b64 v[62:63], v[0:1], off
	v_add3_u32 v0, v157, v161, s17
	v_lshlrev_b64_e32 v[68:69], 3, v[68:69]
	v_ashrrev_i32_e32 v1, 31, v0
	s_delay_alu instid0(VALU_DEP_1) | instskip(SKIP_1) | instid1(VALU_DEP_2)
	v_lshlrev_b64_e32 v[16:17], 3, v[0:1]
	v_subrev_nc_u32_e32 v0, s16, v0
	v_add_co_u32 v16, vcc_lo, s8, v16
	s_wait_alu 0xfffd
	s_delay_alu instid0(VALU_DEP_3)
	v_add_co_ci_u32_e64 v17, null, s9, v17, vcc_lo
	v_add_co_u32 v48, vcc_lo, s8, v48
	s_wait_alu 0xfffd
	v_add_co_ci_u32_e64 v49, null, s9, v49, vcc_lo
	global_load_b64 v[90:91], v[16:17], off
	v_ashrrev_i32_e32 v1, 31, v0
	global_load_b64 v[82:83], v[48:49], off
	v_add3_u32 v48, v20, v161, s17
	v_add3_u32 v20, v20, v160, s17
	v_lshlrev_b64_e32 v[0:1], 3, v[0:1]
	s_delay_alu instid0(VALU_DEP_3) | instskip(NEXT) | instid1(VALU_DEP_3)
	v_ashrrev_i32_e32 v49, 31, v48
	v_ashrrev_i32_e32 v21, 31, v20
	s_delay_alu instid0(VALU_DEP_2) | instskip(NEXT) | instid1(VALU_DEP_1)
	v_lshlrev_b64_e32 v[74:75], 3, v[48:49]
	v_add_co_u32 v74, vcc_lo, s8, v74
	s_wait_alu 0xfffd
	s_delay_alu instid0(VALU_DEP_2)
	v_add_co_ci_u32_e64 v75, null, s9, v75, vcc_lo
	v_add_co_u32 v68, vcc_lo, s8, v68
	s_wait_alu 0xfffd
	v_add_co_ci_u32_e64 v69, null, s9, v69, vcc_lo
	global_load_b64 v[74:75], v[74:75], off
	v_add_co_u32 v0, vcc_lo, s8, v0
	global_load_b64 v[94:95], v[68:69], off
	s_wait_alu 0xfffd
	v_add_co_ci_u32_e64 v1, null, s9, v1, vcc_lo
	v_add_co_u32 v24, vcc_lo, s8, v24
	s_wait_alu 0xfffd
	v_add_co_ci_u32_e64 v25, null, s9, v25, vcc_lo
	s_wait_loadcnt 0x3
	v_add_f64_e64 v[16:17], v[62:63], -v[90:91]
	s_wait_loadcnt 0x2
	v_add_f64_e64 v[12:13], v[12:13], -v[82:83]
	;; [unrolled: 2-line block ×3, first 2 shown]
	v_add_f64_e64 v[10:11], v[10:11], -v[74:75]
	s_delay_alu instid0(VALU_DEP_4) | instskip(NEXT) | instid1(VALU_DEP_4)
	v_mul_f64_e32 v[16:17], s[0:1], v[16:17]
	v_mul_f64_e32 v[12:13], s[0:1], v[12:13]
	s_delay_alu instid0(VALU_DEP_3) | instskip(NEXT) | instid1(VALU_DEP_3)
	v_mul_f64_e32 v[10:11], s[0:1], v[10:11]
	v_fma_f64 v[16:17], v[88:89], s[2:3], v[16:17]
	global_load_b64 v[88:89], v[24:25], off
	v_subrev_nc_u32_e32 v24, s16, v48
	s_delay_alu instid0(VALU_DEP_1) | instskip(NEXT) | instid1(VALU_DEP_1)
	v_ashrrev_i32_e32 v25, 31, v24
	v_lshlrev_b64_e32 v[24:25], 3, v[24:25]
	s_delay_alu instid0(VALU_DEP_1) | instskip(SKIP_1) | instid1(VALU_DEP_2)
	v_add_co_u32 v24, vcc_lo, s8, v24
	s_wait_alu 0xfffd
	v_add_co_ci_u32_e64 v25, null, s9, v25, vcc_lo
	global_load_b64 v[68:69], v[24:25], off
	v_mul_f64_e32 v[16:17], v[72:73], v[16:17]
	global_load_b64 v[72:73], v[0:1], off
	v_mul_f64_e32 v[16:17], v[4:5], v[16:17]
	s_wait_loadcnt 0x2
	v_add_f64_e64 v[14:15], v[14:15], -v[88:89]
	s_wait_loadcnt 0x1
	v_add_f64_e64 v[24:25], v[88:89], -v[68:69]
	v_add_f64_e64 v[8:9], v[8:9], -v[68:69]
	s_wait_loadcnt 0x0
	v_add_f64_e64 v[0:1], v[94:95], -v[72:73]
	s_delay_alu instid0(VALU_DEP_4) | instskip(NEXT) | instid1(VALU_DEP_3)
	v_mul_f64_e32 v[14:15], s[0:1], v[14:15]
	v_mul_f64_e32 v[8:9], s[0:1], v[8:9]
	s_delay_alu instid0(VALU_DEP_3) | instskip(NEXT) | instid1(VALU_DEP_1)
	v_mul_f64_e32 v[0:1], s[0:1], v[0:1]
	v_fma_f64 v[0:1], v[24:25], s[2:3], v[0:1]
	s_delay_alu instid0(VALU_DEP_1) | instskip(NEXT) | instid1(VALU_DEP_1)
	v_mul_f64_e32 v[0:1], v[92:93], v[0:1]
	v_mul_f64_e32 v[0:1], v[18:19], v[0:1]
	s_delay_alu instid0(VALU_DEP_1) | instskip(SKIP_1) | instid1(VALU_DEP_1)
	v_fma_f64 v[0:1], v[18:19], v[16:17], v[0:1]
	v_add3_u32 v16, v159, v162, s17
	v_ashrrev_i32_e32 v17, 31, v16
	s_delay_alu instid0(VALU_DEP_1) | instskip(SKIP_1) | instid1(VALU_DEP_2)
	v_lshlrev_b64_e32 v[24:25], 3, v[16:17]
	v_subrev_nc_u32_e32 v16, s16, v16
	v_add_co_u32 v24, vcc_lo, s8, v24
	s_wait_alu 0xfffd
	s_delay_alu instid0(VALU_DEP_3) | instskip(NEXT) | instid1(VALU_DEP_3)
	v_add_co_ci_u32_e64 v25, null, s9, v25, vcc_lo
	v_ashrrev_i32_e32 v17, 31, v16
	global_load_b64 v[98:99], v[24:25], off
	v_add3_u32 v24, v157, v162, s17
	v_lshlrev_b64_e32 v[16:17], 3, v[16:17]
	s_delay_alu instid0(VALU_DEP_2) | instskip(NEXT) | instid1(VALU_DEP_1)
	v_ashrrev_i32_e32 v25, 31, v24
	v_lshlrev_b64_e32 v[48:49], 3, v[24:25]
	v_subrev_nc_u32_e32 v24, s16, v24
	v_add_f64_e64 v[0:1], v[66:67], -v[0:1]
	s_delay_alu instid0(VALU_DEP_3) | instskip(SKIP_1) | instid1(VALU_DEP_4)
	v_add_co_u32 v48, vcc_lo, s8, v48
	s_wait_alu 0xfffd
	v_add_co_ci_u32_e64 v49, null, s9, v49, vcc_lo
	v_ashrrev_i32_e32 v25, 31, v24
	global_load_b64 v[92:93], v[48:49], off
	v_lshlrev_b64_e32 v[24:25], 3, v[24:25]
	v_fma_f64 v[96:97], v[0:1], s[0:1], v[64:65]
	v_add3_u32 v64, v158, v162, s17
	v_mul_f64_e32 v[0:1], v[54:55], v[78:79]
	s_delay_alu instid0(VALU_DEP_2) | instskip(NEXT) | instid1(VALU_DEP_1)
	v_ashrrev_i32_e32 v65, 31, v64
	v_lshlrev_b64_e32 v[54:55], 3, v[64:65]
	s_delay_alu instid0(VALU_DEP_1) | instskip(SKIP_1) | instid1(VALU_DEP_2)
	v_add_co_u32 v54, vcc_lo, s8, v54
	s_wait_alu 0xfffd
	v_add_co_ci_u32_e64 v55, null, s9, v55, vcc_lo
	global_load_b64 v[66:67], v[54:55], off
	v_lshlrev_b64_e32 v[54:55], 3, v[100:101]
	s_delay_alu instid0(VALU_DEP_1) | instskip(SKIP_1) | instid1(VALU_DEP_2)
	v_add_co_u32 v54, vcc_lo, s8, v54
	s_wait_alu 0xfffd
	v_add_co_ci_u32_e64 v55, null, s9, v55, vcc_lo
	v_add_co_u32 v16, vcc_lo, s8, v16
	s_wait_alu 0xfffd
	v_add_co_ci_u32_e64 v17, null, s9, v17, vcc_lo
	global_load_b64 v[54:55], v[54:55], off
	v_add_co_u32 v24, vcc_lo, s8, v24
	s_wait_alu 0xfffd
	v_add_co_ci_u32_e64 v25, null, s9, v25, vcc_lo
	v_mul_f64_e32 v[0:1], v[0:1], v[86:87]
	s_clause 0x1
	global_load_b64 v[16:17], v[16:17], off
	global_load_b64 v[86:87], v[24:25], off
	s_wait_loadcnt 0x4
	v_add_f64_e64 v[48:49], v[98:99], -v[92:93]
	s_delay_alu instid0(VALU_DEP_1) | instskip(SKIP_4) | instid1(VALU_DEP_2)
	v_mul_f64_e32 v[48:49], s[0:1], v[48:49]
	s_wait_loadcnt 0x2
	v_add_f64_e64 v[78:79], v[66:67], -v[54:55]
	s_wait_loadcnt 0x0
	v_add_f64_e64 v[24:25], v[16:17], -v[86:87]
	v_fma_f64 v[48:49], v[78:79], s[2:3], v[48:49]
	s_delay_alu instid0(VALU_DEP_2) | instskip(NEXT) | instid1(VALU_DEP_2)
	v_mul_f64_e32 v[24:25], s[0:1], v[24:25]
	v_mul_f64_e32 v[0:1], v[0:1], v[48:49]
	v_subrev_nc_u32_e32 v48, s16, v64
	s_delay_alu instid0(VALU_DEP_1) | instskip(NEXT) | instid1(VALU_DEP_1)
	v_ashrrev_i32_e32 v49, 31, v48
	v_lshlrev_b64_e32 v[48:49], 3, v[48:49]
	s_delay_alu instid0(VALU_DEP_1) | instskip(SKIP_1) | instid1(VALU_DEP_2)
	v_add_co_u32 v48, vcc_lo, s8, v48
	s_wait_alu 0xfffd
	v_add_co_ci_u32_e64 v49, null, s9, v49, vcc_lo
	global_load_b64 v[78:79], v[48:49], off
	v_subrev_nc_u32_e32 v48, s16, v100
	s_delay_alu instid0(VALU_DEP_1) | instskip(NEXT) | instid1(VALU_DEP_1)
	v_ashrrev_i32_e32 v49, 31, v48
	v_lshlrev_b64_e32 v[48:49], 3, v[48:49]
	v_mul_f64_e32 v[0:1], v[4:5], v[0:1]
	s_delay_alu instid0(VALU_DEP_2) | instskip(SKIP_1) | instid1(VALU_DEP_3)
	v_add_co_u32 v48, vcc_lo, s8, v48
	s_wait_alu 0xfffd
	v_add_co_ci_u32_e64 v49, null, s9, v49, vcc_lo
	global_load_b64 v[64:65], v[48:49], off
	s_wait_loadcnt 0x0
	v_add_f64_e64 v[48:49], v[78:79], -v[64:65]
	s_delay_alu instid0(VALU_DEP_1) | instskip(SKIP_1) | instid1(VALU_DEP_1)
	v_fma_f64 v[24:25], v[48:49], s[2:3], v[24:25]
	v_add3_u32 v48, v159, v160, s17
	v_ashrrev_i32_e32 v49, 31, v48
	s_delay_alu instid0(VALU_DEP_3) | instskip(NEXT) | instid1(VALU_DEP_1)
	v_mul_f64_e32 v[24:25], v[80:81], v[24:25]
	v_mul_f64_e32 v[24:25], v[18:19], v[24:25]
	s_delay_alu instid0(VALU_DEP_1) | instskip(SKIP_2) | instid1(VALU_DEP_1)
	v_fma_f64 v[0:1], v[18:19], v[0:1], v[24:25]
	v_mul_f64_e32 v[24:25], v[50:51], v[70:71]
	v_lshlrev_b64_e32 v[49:50], 3, v[48:49]
	v_add_co_u32 v49, vcc_lo, s8, v49
	s_wait_alu 0xfffd
	s_delay_alu instid0(VALU_DEP_2) | instskip(SKIP_2) | instid1(VALU_DEP_1)
	v_add_co_ci_u32_e64 v50, null, s9, v50, vcc_lo
	global_load_b64 v[100:101], v[49:50], off
	v_add3_u32 v49, v157, v160, s17
	v_ashrrev_i32_e32 v50, 31, v49
	s_delay_alu instid0(VALU_DEP_1) | instskip(NEXT) | instid1(VALU_DEP_1)
	v_lshlrev_b64_e32 v[50:51], 3, v[49:50]
	v_add_co_u32 v50, vcc_lo, s8, v50
	s_wait_alu 0xfffd
	s_delay_alu instid0(VALU_DEP_2) | instskip(SKIP_3) | instid1(VALU_DEP_1)
	v_add_co_ci_u32_e64 v51, null, s9, v51, vcc_lo
	global_load_b64 v[102:103], v[50:51], off
	v_mul_f64_e32 v[24:25], v[24:25], v[84:85]
	v_add3_u32 v84, v158, v160, s17
	v_ashrrev_i32_e32 v85, 31, v84
	s_delay_alu instid0(VALU_DEP_1) | instskip(NEXT) | instid1(VALU_DEP_1)
	v_lshlrev_b64_e32 v[70:71], 3, v[84:85]
	v_add_co_u32 v70, vcc_lo, s8, v70
	s_wait_alu 0xfffd
	s_delay_alu instid0(VALU_DEP_2) | instskip(SKIP_3) | instid1(VALU_DEP_2)
	v_add_co_ci_u32_e64 v71, null, s9, v71, vcc_lo
	global_load_b64 v[80:81], v[70:71], off
	v_lshlrev_b64_e32 v[70:71], 3, v[20:21]
	v_subrev_nc_u32_e32 v20, s16, v20
	v_add_co_u32 v70, vcc_lo, s8, v70
	s_wait_alu 0xfffd
	s_delay_alu instid0(VALU_DEP_3) | instskip(NEXT) | instid1(VALU_DEP_3)
	v_add_co_ci_u32_e64 v71, null, s9, v71, vcc_lo
	v_ashrrev_i32_e32 v21, 31, v20
	global_load_b64 v[70:71], v[70:71], off
	v_lshlrev_b64_e32 v[20:21], 3, v[20:21]
	s_wait_loadcnt 0x2
	v_add_f64_e64 v[50:51], v[100:101], -v[102:103]
	s_delay_alu instid0(VALU_DEP_1) | instskip(SKIP_2) | instid1(VALU_DEP_1)
	v_mul_f64_e32 v[50:51], s[0:1], v[50:51]
	s_wait_loadcnt 0x0
	v_add_f64_e64 v[104:105], v[80:81], -v[70:71]
	v_fma_f64 v[50:51], v[104:105], s[2:3], v[50:51]
	s_delay_alu instid0(VALU_DEP_1) | instskip(NEXT) | instid1(VALU_DEP_1)
	v_mul_f64_e32 v[24:25], v[24:25], v[50:51]
	v_mul_f64_e32 v[4:5], v[4:5], v[24:25]
	v_subrev_nc_u32_e32 v24, s16, v48
	v_subrev_nc_u32_e32 v48, s16, v49
	s_delay_alu instid0(VALU_DEP_2) | instskip(NEXT) | instid1(VALU_DEP_2)
	v_ashrrev_i32_e32 v25, 31, v24
	v_ashrrev_i32_e32 v49, 31, v48
	s_delay_alu instid0(VALU_DEP_2) | instskip(NEXT) | instid1(VALU_DEP_2)
	v_lshlrev_b64_e32 v[24:25], 3, v[24:25]
	v_lshlrev_b64_e32 v[48:49], 3, v[48:49]
	s_delay_alu instid0(VALU_DEP_2) | instskip(SKIP_1) | instid1(VALU_DEP_3)
	v_add_co_u32 v24, vcc_lo, s8, v24
	s_wait_alu 0xfffd
	v_add_co_ci_u32_e64 v25, null, s9, v25, vcc_lo
	s_delay_alu instid0(VALU_DEP_3)
	v_add_co_u32 v48, vcc_lo, s8, v48
	s_wait_alu 0xfffd
	v_add_co_ci_u32_e64 v49, null, s9, v49, vcc_lo
	s_clause 0x1
	global_load_b64 v[24:25], v[24:25], off
	global_load_b64 v[48:49], v[48:49], off
	s_wait_loadcnt 0x1
	v_add_f64_e64 v[16:17], v[16:17], -v[24:25]
	s_wait_loadcnt 0x0
	v_add_f64_e64 v[50:51], v[24:25], -v[48:49]
	v_add_f64_e64 v[24:25], v[92:93], -v[102:103]
	s_delay_alu instid0(VALU_DEP_2) | instskip(SKIP_1) | instid1(VALU_DEP_1)
	v_mul_f64_e32 v[104:105], s[0:1], v[50:51]
	v_subrev_nc_u32_e32 v50, s16, v84
	v_ashrrev_i32_e32 v51, 31, v50
	s_delay_alu instid0(VALU_DEP_1) | instskip(NEXT) | instid1(VALU_DEP_1)
	v_lshlrev_b64_e32 v[50:51], 3, v[50:51]
	v_add_co_u32 v50, vcc_lo, s8, v50
	s_wait_alu 0xfffd
	s_delay_alu instid0(VALU_DEP_2)
	v_add_co_ci_u32_e64 v51, null, s9, v51, vcc_lo
	v_add_co_u32 v20, vcc_lo, s8, v20
	s_wait_alu 0xfffd
	v_add_co_ci_u32_e64 v21, null, s9, v21, vcc_lo
	s_clause 0x1
	global_load_b64 v[84:85], v[50:51], off
	global_load_b64 v[50:51], v[20:21], off
	s_wait_loadcnt 0x0
	v_add_f64_e64 v[20:21], v[84:85], -v[50:51]
	s_delay_alu instid0(VALU_DEP_1) | instskip(NEXT) | instid1(VALU_DEP_1)
	v_fma_f64 v[20:21], v[20:21], s[2:3], v[104:105]
	v_mul_f64_e32 v[20:21], v[76:77], v[20:21]
	s_delay_alu instid0(VALU_DEP_1) | instskip(NEXT) | instid1(VALU_DEP_1)
	v_mul_f64_e32 v[20:21], v[18:19], v[20:21]
	v_fma_f64 v[4:5], v[18:19], v[4:5], v[20:21]
	v_add_f64_e64 v[20:21], v[58:59], -v[62:63]
	s_delay_alu instid0(VALU_DEP_2) | instskip(NEXT) | instid1(VALU_DEP_2)
	v_add_f64_e64 v[0:1], v[0:1], -v[4:5]
	v_mul_f64_e32 v[20:21], s[0:1], v[20:21]
	s_delay_alu instid0(VALU_DEP_2)
	v_fma_f64 v[4:5], v[0:1], s[2:3], v[96:97]
	v_add_co_u32 v0, vcc_lo, s14, v46
	s_wait_alu 0xfffd
	v_add_co_ci_u32_e64 v1, null, s15, v47, vcc_lo
	v_add_f64_e64 v[46:47], v[98:99], -v[100:101]
	global_load_b64 v[0:1], v[0:1], off
	v_fma_f64 v[20:21], v[46:47], s[2:3], v[20:21]
	s_wait_loadcnt 0x0
	v_mul_f64_e32 v[0:1], v[42:43], v[0:1]
	s_delay_alu instid0(VALU_DEP_1) | instskip(NEXT) | instid1(VALU_DEP_1)
	v_mul_f64_e32 v[0:1], v[44:45], v[0:1]
	v_mul_f64_e32 v[0:1], v[20:21], v[0:1]
	v_add_nc_u32_e32 v20, s18, v191
	s_delay_alu instid0(VALU_DEP_1) | instskip(NEXT) | instid1(VALU_DEP_1)
	v_ashrrev_i32_e32 v21, 31, v20
	v_lshlrev_b64_e32 v[20:21], 3, v[20:21]
	s_delay_alu instid0(VALU_DEP_1) | instskip(SKIP_1) | instid1(VALU_DEP_2)
	v_add_co_u32 v20, vcc_lo, s14, v20
	s_wait_alu 0xfffd
	v_add_co_ci_u32_e64 v21, null, s15, v21, vcc_lo
	global_load_b64 v[20:21], v[20:21], off
	s_wait_loadcnt 0x0
	v_mul_f64_e32 v[20:21], v[42:43], v[20:21]
	v_add_f64_e64 v[42:43], v[60:61], -v[94:95]
	s_delay_alu instid0(VALU_DEP_2) | instskip(NEXT) | instid1(VALU_DEP_2)
	v_mul_f64_e32 v[20:21], v[44:45], v[20:21]
	v_mul_f64_e32 v[42:43], s[0:1], v[42:43]
	s_delay_alu instid0(VALU_DEP_1) | instskip(NEXT) | instid1(VALU_DEP_1)
	v_fma_f64 v[16:17], v[16:17], s[2:3], v[42:43]
	v_mul_f64_e32 v[16:17], v[16:17], v[20:21]
	scratch_load_b64 v[20:21], off, off offset:20 th:TH_LOAD_LU ; 8-byte Folded Reload
	s_wait_loadcnt 0x0
	v_fma_f64 v[0:1], v[20:21], v[0:1], v[16:17]
	v_add_co_u32 v16, vcc_lo, s14, v40
	s_wait_alu 0xfffd
	v_add_co_ci_u32_e64 v17, null, s15, v41, vcc_lo
	v_add_f64_e64 v[20:21], v[56:57], -v[90:91]
	global_load_b64 v[16:17], v[16:17], off
	v_mul_f64_e32 v[20:21], s[0:1], v[20:21]
	s_delay_alu instid0(VALU_DEP_1) | instskip(SKIP_1) | instid1(VALU_DEP_1)
	v_fma_f64 v[20:21], v[24:25], s[2:3], v[20:21]
	v_add_f64_e64 v[24:25], v[52:53], -v[72:73]
	v_mul_f64_e32 v[24:25], s[0:1], v[24:25]
	s_wait_loadcnt 0x0
	v_mul_f64_e32 v[16:17], v[36:37], v[16:17]
	s_delay_alu instid0(VALU_DEP_1) | instskip(NEXT) | instid1(VALU_DEP_1)
	v_mul_f64_e32 v[16:17], v[28:29], v[16:17]
	v_mul_f64_e32 v[16:17], v[20:21], v[16:17]
	v_add_nc_u32_e32 v20, s18, v3
	v_ashrrev_i32_e32 v3, 31, v2
	s_delay_alu instid0(VALU_DEP_2) | instskip(NEXT) | instid1(VALU_DEP_2)
	v_ashrrev_i32_e32 v21, 31, v20
	v_lshlrev_b64_e32 v[2:3], 3, v[2:3]
	s_delay_alu instid0(VALU_DEP_2) | instskip(NEXT) | instid1(VALU_DEP_1)
	v_lshlrev_b64_e32 v[20:21], 3, v[20:21]
	v_add_co_u32 v20, vcc_lo, s14, v20
	s_wait_alu 0xfffd
	s_delay_alu instid0(VALU_DEP_2) | instskip(SKIP_3) | instid1(VALU_DEP_1)
	v_add_co_ci_u32_e64 v21, null, s15, v21, vcc_lo
	global_load_b64 v[20:21], v[20:21], off
	s_wait_loadcnt 0x0
	v_mul_f64_e32 v[20:21], v[36:37], v[20:21]
	v_mul_f64_e32 v[20:21], v[28:29], v[20:21]
	v_add_f64_e64 v[28:29], v[86:87], -v[48:49]
	s_delay_alu instid0(VALU_DEP_1) | instskip(NEXT) | instid1(VALU_DEP_1)
	v_fma_f64 v[24:25], v[28:29], s[2:3], v[24:25]
	v_mul_f64_e32 v[20:21], v[24:25], v[20:21]
	s_delay_alu instid0(VALU_DEP_1) | instskip(SKIP_1) | instid1(VALU_DEP_2)
	v_fma_f64 v[16:17], v[153:154], v[16:17], v[20:21]
	v_add_f64_e64 v[20:21], v[66:67], -v[80:81]
	v_add_f64_e64 v[0:1], v[0:1], -v[16:17]
	v_add_co_u32 v16, vcc_lo, s14, v38
	s_wait_alu 0xfffd
	v_add_co_ci_u32_e64 v17, null, s15, v39, vcc_lo
	v_add_co_u32 v2, vcc_lo, s14, v2
	s_wait_alu 0xfffd
	v_add_co_ci_u32_e64 v3, null, s15, v3, vcc_lo
	global_load_b64 v[16:17], v[16:17], off
	v_fma_f64 v[12:13], v[20:21], s[2:3], v[12:13]
	global_load_b64 v[2:3], v[2:3], off
	v_mul_f64_e32 v[0:1], s[0:1], v[0:1]
	s_wait_loadcnt 0x1
	v_mul_f64_e32 v[16:17], v[30:31], v[16:17]
	s_wait_loadcnt 0x0
	v_mul_f64_e32 v[2:3], v[30:31], v[2:3]
	s_delay_alu instid0(VALU_DEP_2) | instskip(NEXT) | instid1(VALU_DEP_2)
	v_mul_f64_e32 v[16:17], v[34:35], v[16:17]
	v_mul_f64_e32 v[2:3], v[34:35], v[2:3]
	s_delay_alu instid0(VALU_DEP_2) | instskip(SKIP_1) | instid1(VALU_DEP_1)
	v_mul_f64_e32 v[12:13], v[12:13], v[16:17]
	v_add_f64_e64 v[16:17], v[78:79], -v[84:85]
	v_fma_f64 v[14:15], v[16:17], s[2:3], v[14:15]
	s_delay_alu instid0(VALU_DEP_1) | instskip(NEXT) | instid1(VALU_DEP_1)
	v_mul_f64_e32 v[2:3], v[14:15], v[2:3]
	v_fma_f64 v[6:7], v[6:7], v[12:13], v[2:3]
	v_add_co_u32 v2, vcc_lo, s14, v26
	s_wait_alu 0xfffd
	v_add_co_ci_u32_e64 v3, null, s15, v27, vcc_lo
	global_load_b64 v[2:3], v[2:3], off
	scratch_load_b64 v[14:15], off, off offset:12 th:TH_LOAD_LU ; 8-byte Folded Reload
	v_add_f64_e64 v[12:13], v[54:55], -v[70:71]
	s_delay_alu instid0(VALU_DEP_1) | instskip(SKIP_1) | instid1(VALU_DEP_1)
	v_fma_f64 v[10:11], v[12:13], s[2:3], v[10:11]
	v_add_f64_e64 v[12:13], v[64:65], -v[50:51]
	v_fma_f64 v[8:9], v[12:13], s[2:3], v[8:9]
	s_wait_loadcnt 0x0
	v_mul_f64_e32 v[2:3], v[14:15], v[2:3]
	s_delay_alu instid0(VALU_DEP_1) | instskip(NEXT) | instid1(VALU_DEP_1)
	v_mul_f64_e32 v[2:3], v[22:23], v[2:3]
	v_mul_f64_e32 v[2:3], v[10:11], v[2:3]
	scratch_load_b32 v10, off, off offset:8 th:TH_LOAD_LU ; 4-byte Folded Reload
	s_wait_loadcnt 0x0
	v_add_nc_u32_e32 v10, s18, v10
	s_delay_alu instid0(VALU_DEP_1) | instskip(NEXT) | instid1(VALU_DEP_1)
	v_ashrrev_i32_e32 v11, 31, v10
	v_lshlrev_b64_e32 v[10:11], 3, v[10:11]
	s_delay_alu instid0(VALU_DEP_1) | instskip(SKIP_1) | instid1(VALU_DEP_2)
	v_add_co_u32 v10, vcc_lo, s14, v10
	s_wait_alu 0xfffd
	v_add_co_ci_u32_e64 v11, null, s15, v11, vcc_lo
	global_load_b64 v[10:11], v[10:11], off
	s_wait_loadcnt 0x0
	v_mul_f64_e32 v[10:11], v[14:15], v[10:11]
	s_delay_alu instid0(VALU_DEP_1) | instskip(NEXT) | instid1(VALU_DEP_1)
	v_mul_f64_e32 v[10:11], v[22:23], v[10:11]
	v_mul_f64_e32 v[8:9], v[8:9], v[10:11]
	s_delay_alu instid0(VALU_DEP_1) | instskip(NEXT) | instid1(VALU_DEP_1)
	v_fma_f64 v[2:3], v[155:156], v[2:3], v[8:9]
	v_add_f64_e64 v[2:3], v[6:7], -v[2:3]
	scratch_load_b64 v[6:7], off, off th:TH_LOAD_LU ; 8-byte Folded Reload
	v_fma_f64 v[0:1], v[2:3], s[2:3], v[0:1]
	scratch_load_b64 v[2:3], off, off offset:28 th:TH_LOAD_LU ; 8-byte Folded Reload
	v_fma_f64 v[0:1], v[18:19], v[0:1], v[4:5]
	s_wait_loadcnt 0x0
	s_delay_alu instid0(VALU_DEP_1)
	v_add_f64_e32 v[0:1], v[2:3], v[0:1]
	v_add_co_u32 v2, vcc_lo, s22, v32
	s_wait_alu 0xfffd
	v_add_co_ci_u32_e64 v3, null, s23, v33, vcc_lo
	global_load_b64 v[4:5], v[2:3], off
	v_mul_f64_e32 v[0:1], s[6:7], v[0:1]
	s_delay_alu instid0(VALU_DEP_1) | instskip(SKIP_1) | instid1(VALU_DEP_1)
	v_mul_f64_e32 v[0:1], v[6:7], v[0:1]
	s_wait_loadcnt 0x0
	v_fma_f64 v[0:1], s[4:5], v[4:5], v[0:1]
	global_store_b64 v[2:3], v[0:1], off
.LBB3_2:
	s_nop 0
	s_sendmsg sendmsg(MSG_DEALLOC_VGPRS)
	s_endpgm
	.section	.rodata,"a",@progbits
	.p2align	6, 0x0
	.amdhsa_kernel _Z7kernel4iiiiiiiiiiiiddPKdS0_S0_S0_S0_PdS0_S0_S0_S0_S0_S0_S0_
		.amdhsa_group_segment_fixed_size 0
		.amdhsa_private_segment_fixed_size 40
		.amdhsa_kernarg_size 424
		.amdhsa_user_sgpr_count 2
		.amdhsa_user_sgpr_dispatch_ptr 0
		.amdhsa_user_sgpr_queue_ptr 0
		.amdhsa_user_sgpr_kernarg_segment_ptr 1
		.amdhsa_user_sgpr_dispatch_id 0
		.amdhsa_user_sgpr_private_segment_size 0
		.amdhsa_wavefront_size32 1
		.amdhsa_uses_dynamic_stack 0
		.amdhsa_enable_private_segment 1
		.amdhsa_system_sgpr_workgroup_id_x 1
		.amdhsa_system_sgpr_workgroup_id_y 1
		.amdhsa_system_sgpr_workgroup_id_z 1
		.amdhsa_system_sgpr_workgroup_info 0
		.amdhsa_system_vgpr_workitem_id 2
		.amdhsa_next_free_vgpr 192
		.amdhsa_next_free_sgpr 28
		.amdhsa_reserve_vcc 1
		.amdhsa_float_round_mode_32 0
		.amdhsa_float_round_mode_16_64 0
		.amdhsa_float_denorm_mode_32 3
		.amdhsa_float_denorm_mode_16_64 3
		.amdhsa_fp16_overflow 0
		.amdhsa_workgroup_processor_mode 1
		.amdhsa_memory_ordered 1
		.amdhsa_forward_progress 1
		.amdhsa_inst_pref_size 96
		.amdhsa_round_robin_scheduling 0
		.amdhsa_exception_fp_ieee_invalid_op 0
		.amdhsa_exception_fp_denorm_src 0
		.amdhsa_exception_fp_ieee_div_zero 0
		.amdhsa_exception_fp_ieee_overflow 0
		.amdhsa_exception_fp_ieee_underflow 0
		.amdhsa_exception_fp_ieee_inexact 0
		.amdhsa_exception_int_div_zero 0
	.end_amdhsa_kernel
	.text
.Lfunc_end3:
	.size	_Z7kernel4iiiiiiiiiiiiddPKdS0_S0_S0_S0_PdS0_S0_S0_S0_S0_S0_S0_, .Lfunc_end3-_Z7kernel4iiiiiiiiiiiiddPKdS0_S0_S0_S0_PdS0_S0_S0_S0_S0_S0_S0_
                                        ; -- End function
	.set _Z7kernel4iiiiiiiiiiiiddPKdS0_S0_S0_S0_PdS0_S0_S0_S0_S0_S0_S0_.num_vgpr, 192
	.set _Z7kernel4iiiiiiiiiiiiddPKdS0_S0_S0_S0_PdS0_S0_S0_S0_S0_S0_S0_.num_agpr, 0
	.set _Z7kernel4iiiiiiiiiiiiddPKdS0_S0_S0_S0_PdS0_S0_S0_S0_S0_S0_S0_.numbered_sgpr, 28
	.set _Z7kernel4iiiiiiiiiiiiddPKdS0_S0_S0_S0_PdS0_S0_S0_S0_S0_S0_S0_.num_named_barrier, 0
	.set _Z7kernel4iiiiiiiiiiiiddPKdS0_S0_S0_S0_PdS0_S0_S0_S0_S0_S0_S0_.private_seg_size, 40
	.set _Z7kernel4iiiiiiiiiiiiddPKdS0_S0_S0_S0_PdS0_S0_S0_S0_S0_S0_S0_.uses_vcc, 1
	.set _Z7kernel4iiiiiiiiiiiiddPKdS0_S0_S0_S0_PdS0_S0_S0_S0_S0_S0_S0_.uses_flat_scratch, 0
	.set _Z7kernel4iiiiiiiiiiiiddPKdS0_S0_S0_S0_PdS0_S0_S0_S0_S0_S0_S0_.has_dyn_sized_stack, 0
	.set _Z7kernel4iiiiiiiiiiiiddPKdS0_S0_S0_S0_PdS0_S0_S0_S0_S0_S0_S0_.has_recursion, 0
	.set _Z7kernel4iiiiiiiiiiiiddPKdS0_S0_S0_S0_PdS0_S0_S0_S0_S0_S0_S0_.has_indirect_call, 0
	.section	.AMDGPU.csdata,"",@progbits
; Kernel info:
; codeLenInByte = 12196
; TotalNumSgprs: 30
; NumVgprs: 192
; ScratchSize: 40
; MemoryBound: 0
; FloatMode: 240
; IeeeMode: 1
; LDSByteSize: 0 bytes/workgroup (compile time only)
; SGPRBlocks: 0
; VGPRBlocks: 23
; NumSGPRsForWavesPerEU: 30
; NumVGPRsForWavesPerEU: 192
; Occupancy: 8
; WaveLimiterHint : 0
; COMPUTE_PGM_RSRC2:SCRATCH_EN: 1
; COMPUTE_PGM_RSRC2:USER_SGPR: 2
; COMPUTE_PGM_RSRC2:TRAP_HANDLER: 0
; COMPUTE_PGM_RSRC2:TGID_X_EN: 1
; COMPUTE_PGM_RSRC2:TGID_Y_EN: 1
; COMPUTE_PGM_RSRC2:TGID_Z_EN: 1
; COMPUTE_PGM_RSRC2:TIDIG_COMP_CNT: 2
	.text
	.protected	_Z7kernel5iiiiiiiiiiiiiddPKdS0_S0_S0_S0_PdS0_S0_S0_S0_S0_S0_S0_ ; -- Begin function _Z7kernel5iiiiiiiiiiiiiddPKdS0_S0_S0_S0_PdS0_S0_S0_S0_S0_S0_S0_
	.globl	_Z7kernel5iiiiiiiiiiiiiddPKdS0_S0_S0_S0_PdS0_S0_S0_S0_S0_S0_S0_
	.p2align	8
	.type	_Z7kernel5iiiiiiiiiiiiiddPKdS0_S0_S0_S0_PdS0_S0_S0_S0_S0_S0_S0_,@function
_Z7kernel5iiiiiiiiiiiiiddPKdS0_S0_S0_S0_PdS0_S0_S0_S0_S0_S0_S0_: ; @_Z7kernel5iiiiiiiiiiiiiddPKdS0_S0_S0_S0_PdS0_S0_S0_S0_S0_S0_S0_
; %bb.0:
	s_clause 0x1
	s_load_b256 s[12:19], s[0:1], 0x0
	s_load_b64 s[2:3], s[0:1], 0xbc
	v_and_b32_e32 v49, 0x3ff, v0
	v_bfe_u32 v1, v0, 10, 10
	s_and_b32 s35, ttmp7, 0xffff
	v_bfe_u32 v0, v0, 20, 10
	s_lshr_b32 s4, ttmp7, 16
	s_wait_kmcnt 0x0
	v_add_nc_u32_e32 v85, s12, v49
	v_add_nc_u32_e32 v80, s14, v1
	s_lshr_b32 s5, s2, 16
	s_and_b32 s2, s2, 0xffff
	s_and_b32 s3, s3, 0xffff
	s_mul_i32 s33, ttmp9, s2
	s_mul_i32 s35, s35, s5
	s_mul_i32 s4, s4, s3
	v_add_nc_u32_e32 v27, s33, v85
	v_add_nc_u32_e32 v26, s35, v80
	v_add3_u32 v81, s4, s16, v0
	s_delay_alu instid0(VALU_DEP_3) | instskip(NEXT) | instid1(VALU_DEP_3)
	v_cmp_gt_i32_e32 vcc_lo, s13, v27
	v_cmp_gt_i32_e64 s2, s15, v26
	s_delay_alu instid0(VALU_DEP_3) | instskip(SKIP_1) | instid1(SALU_CYCLE_1)
	v_cmp_gt_i32_e64 s3, s17, v81
	s_and_b32 s2, vcc_lo, s2
	s_and_b32 s2, s2, s3
	s_delay_alu instid0(SALU_CYCLE_1)
	s_and_saveexec_b32 s3, s2
	s_cbranch_execz .LBB4_13
; %bb.1:
	s_clause 0x5
	s_load_b256 s[20:27], s[0:1], 0x90
	s_load_b64 s[14:15], s[0:1], 0x80
	s_load_b128 s[28:31], s[0:1], 0x68
	s_load_b256 s[4:11], s[0:1], 0x48
	s_load_b128 s[36:39], s[0:1], 0x20
	s_load_b32 s34, s[0:1], 0x30
	v_subrev_nc_u32_e32 v0, s18, v27
	s_sub_co_i32 s16, s19, s18
	v_add_nc_u32_e32 v74, -2, v27
	s_wait_alu 0xfffe
	s_not_b32 s2, s16
	s_add_co_i32 s16, s16, 1
	v_ashrrev_i32_e32 v1, 31, v0
	s_wait_alu 0xfffe
	v_mul_lo_u32 v37, v26, s16
	v_add_nc_u32_e32 v75, -1, v27
	v_add_nc_u32_e32 v76, 1, v27
	v_add_nc_u32_e32 v77, 2, v27
	v_lshlrev_b64_e32 v[0:1], 3, v[0:1]
	s_sub_co_i32 s40, 0, s18
	s_wait_kmcnt 0x0
	s_delay_alu instid0(VALU_DEP_1)
	v_add_co_u32 v4, vcc_lo, s24, v0
	s_sub_co_i32 s37, s37, s36
	s_mul_i32 s13, s36, s2
	s_add_co_i32 s37, s37, 1
	v_add_co_ci_u32_e64 v5, null, s25, v1, vcc_lo
	s_mul_i32 s24, s37, s16
	s_clause 0x2
	global_load_b64 v[90:91], v[4:5], off offset:16
	global_load_b128 v[0:3], v[4:5], off
	global_load_b128 v[12:15], v[4:5], off offset:-16
	s_wait_alu 0xfffe
	s_mul_i32 s2, s24, s38
	v_mul_lo_u32 v29, v81, s24
	s_add_co_i32 s2, s18, s2
	v_subrev_nc_u32_e32 v4, s36, v26
	s_sub_co_i32 s2, s13, s2
	s_sub_co_i32 s3, s39, s38
	v_add_nc_u32_e32 v30, s2, v27
	s_add_co_i32 s3, s3, 1
	v_ashrrev_i32_e32 v5, 31, v4
	v_add3_u32 v45, v29, v37, s2
	s_wait_alu 0xfffe
	s_mul_i32 s17, s3, s24
	v_add_nc_u32_e32 v28, v37, v30
	s_wait_alu 0xfffe
	s_ashr_i32 s25, s17, 31
	v_lshlrev_b64_e32 v[4:5], 3, v[4:5]
	v_add_nc_u32_e32 v39, v45, v76
	v_add_nc_u32_e32 v26, -2, v26
	v_add_nc_u32_e32 v16, v28, v29
	s_add_co_i32 s41, s34, s39
	s_lshl_b32 s42, s38, 1
	v_add_co_u32 v8, vcc_lo, s26, v4
	s_delay_alu instid0(VALU_DEP_2)
	v_ashrrev_i32_e32 v17, 31, v16
	s_wait_alu 0xfffd
	v_add_co_ci_u32_e64 v9, null, s27, v5, vcc_lo
	s_clause 0x2
	global_load_b64 v[94:95], v[8:9], off offset:16
	global_load_b128 v[4:7], v[8:9], off
	global_load_b128 v[8:11], v[8:9], off offset:-16
	v_lshlrev_b64_e32 v[20:21], 3, v[16:17]
	v_ashrrev_i32_e32 v40, 31, v39
	s_lshl_b32 s26, s17, 1
	s_sub_co_i32 s41, s41, s42
	s_wait_alu 0xfffe
	s_ashr_i32 s27, s26, 31
	s_add_co_i32 s41, s41, -6
	v_add_co_u32 v16, vcc_lo, s28, v20
	s_wait_alu 0xfffd
	v_add_co_ci_u32_e64 v17, null, s29, v21, vcc_lo
	s_sub_co_i32 s28, s2, s17
	v_lshlrev_b64_e32 v[39:40], 3, v[39:40]
	s_wait_alu 0xfffe
	s_ashr_i32 s2, s28, 31
	global_load_b64 v[16:17], v[16:17], off
	v_add_nc_u32_e32 v62, s28, v27
	s_mul_i32 s29, s17, 3
	s_mul_i32 s41, s41, s37
	s_wait_alu 0xfffe
	s_ashr_i32 s36, s29, 31
	s_mul_i32 s42, s38, 3
	v_add_nc_u32_e32 v83, v37, v62
	s_delay_alu instid0(VALU_DEP_1) | instskip(NEXT) | instid1(VALU_DEP_1)
	v_add_nc_u32_e32 v82, v83, v29
	v_ashrrev_i32_e32 v84, 31, v82
	s_wait_loadcnt 0x0
	scratch_store_b64 off, v[16:17], off offset:24 ; 8-byte Folded Spill
	v_div_scale_f64 v[16:17], null, v[4:5], v[4:5], 1.0
	s_delay_alu instid0(VALU_DEP_1) | instskip(NEXT) | instid1(TRANS32_DEP_1)
	v_rcp_f64_e32 v[18:19], v[16:17]
	v_fma_f64 v[22:23], -v[16:17], v[18:19], 1.0
	s_delay_alu instid0(VALU_DEP_1) | instskip(NEXT) | instid1(VALU_DEP_1)
	v_fma_f64 v[18:19], v[18:19], v[22:23], v[18:19]
	v_fma_f64 v[22:23], -v[16:17], v[18:19], 1.0
	s_delay_alu instid0(VALU_DEP_1) | instskip(SKIP_1) | instid1(VALU_DEP_1)
	v_fma_f64 v[18:19], v[18:19], v[22:23], v[18:19]
	v_div_scale_f64 v[22:23], vcc_lo, 1.0, v[4:5], 1.0
	v_mul_f64_e32 v[24:25], v[22:23], v[18:19]
	s_delay_alu instid0(VALU_DEP_1) | instskip(SKIP_1) | instid1(VALU_DEP_1)
	v_fma_f64 v[16:17], -v[16:17], v[24:25], v[22:23]
	s_wait_alu 0xfffd
	v_div_fmas_f64 v[16:17], v[16:17], v[18:19], v[24:25]
	s_delay_alu instid0(VALU_DEP_1) | instskip(SKIP_1) | instid1(VALU_DEP_1)
	v_div_fixup_f64 v[142:143], v[16:17], v[4:5], 1.0
	v_div_scale_f64 v[16:17], null, v[0:1], v[0:1], 1.0
	v_rcp_f64_e32 v[18:19], v[16:17]
	s_delay_alu instid0(TRANS32_DEP_1) | instskip(NEXT) | instid1(VALU_DEP_1)
	v_fma_f64 v[22:23], -v[16:17], v[18:19], 1.0
	v_fma_f64 v[18:19], v[18:19], v[22:23], v[18:19]
	s_delay_alu instid0(VALU_DEP_1) | instskip(NEXT) | instid1(VALU_DEP_1)
	v_fma_f64 v[22:23], -v[16:17], v[18:19], 1.0
	v_fma_f64 v[18:19], v[18:19], v[22:23], v[18:19]
	v_div_scale_f64 v[22:23], vcc_lo, 1.0, v[0:1], 1.0
	s_delay_alu instid0(VALU_DEP_1) | instskip(NEXT) | instid1(VALU_DEP_1)
	v_mul_f64_e32 v[24:25], v[22:23], v[18:19]
	v_fma_f64 v[16:17], -v[16:17], v[24:25], v[22:23]
	s_wait_alu 0xfffd
	s_delay_alu instid0(VALU_DEP_1) | instskip(NEXT) | instid1(VALU_DEP_1)
	v_div_fmas_f64 v[16:17], v[16:17], v[18:19], v[24:25]
	v_div_fixup_f64 v[52:53], v[16:17], v[0:1], 1.0
	v_add_nc_u32_e32 v16, v45, v74
	s_delay_alu instid0(VALU_DEP_1) | instskip(NEXT) | instid1(VALU_DEP_1)
	v_ashrrev_i32_e32 v17, 31, v16
	v_lshlrev_b64_e32 v[16:17], 3, v[16:17]
	s_delay_alu instid0(VALU_DEP_1) | instskip(SKIP_1) | instid1(VALU_DEP_2)
	v_add_co_u32 v18, vcc_lo, s6, v16
	s_wait_alu 0xfffd
	v_add_co_ci_u32_e64 v19, null, s7, v17, vcc_lo
	v_add_co_u32 v16, vcc_lo, s8, v16
	s_wait_alu 0xfffd
	v_add_co_ci_u32_e64 v17, null, s9, v17, vcc_lo
	global_load_b64 v[126:127], v[18:19], off
	v_ashrrev_i32_e32 v18, 31, v27
	v_add_co_u32 v19, vcc_lo, v27, s28
	global_load_b64 v[122:123], v[16:17], off
	v_ashrrev_i32_e32 v17, 31, v37
	s_wait_alu 0xfffd
	v_add_co_ci_u32_e64 v18, null, s2, v18, vcc_lo
	v_add_co_u32 v19, vcc_lo, v19, v37
	v_ashrrev_i32_e32 v16, 31, v29
	s_wait_alu 0xfffd
	s_delay_alu instid0(VALU_DEP_3) | instskip(NEXT) | instid1(VALU_DEP_3)
	v_add_co_ci_u32_e64 v17, null, v18, v17, vcc_lo
	v_add_co_u32 v18, vcc_lo, v19, v29
	s_mov_b32 s2, 0x55555555
	s_wait_alu 0xfffd
	v_add_co_ci_u32_e64 v17, null, v17, v16, vcc_lo
	v_add_co_u32 v16, vcc_lo, v18, s17
	s_mov_b32 s3, 0x3fc55555
	s_wait_alu 0xfffd
	v_add_co_ci_u32_e64 v17, null, s25, v17, vcc_lo
	v_mul_f64_e32 v[58:59], v[52:53], v[142:143]
	s_delay_alu instid0(VALU_DEP_2) | instskip(NEXT) | instid1(VALU_DEP_1)
	v_lshlrev_b64_e32 v[16:17], 3, v[16:17]
	v_add_co_u32 v16, vcc_lo, s10, v16
	s_wait_alu 0xfffd
	s_delay_alu instid0(VALU_DEP_2) | instskip(SKIP_4) | instid1(VALU_DEP_1)
	v_add_co_ci_u32_e64 v17, null, s11, v17, vcc_lo
	global_load_b128 v[16:19], v[16:17], off offset:-16
	s_wait_loadcnt 0x1
	v_fma_f64 v[22:23], v[126:127], 2.0, v[122:123]
	s_wait_loadcnt 0x0
	v_mul_f64_e32 v[22:23], v[22:23], v[16:17]
	s_delay_alu instid0(VALU_DEP_1) | instskip(SKIP_2) | instid1(VALU_DEP_2)
	v_mul_f64_e32 v[31:32], v[16:17], v[22:23]
	v_add_nc_u32_e32 v22, v45, v75
	v_add_nc_u32_e32 v45, v45, v77
	v_ashrrev_i32_e32 v23, 31, v22
	s_delay_alu instid0(VALU_DEP_2) | instskip(NEXT) | instid1(VALU_DEP_2)
	v_ashrrev_i32_e32 v46, 31, v45
	v_lshlrev_b64_e32 v[22:23], 3, v[22:23]
	s_delay_alu instid0(VALU_DEP_2) | instskip(NEXT) | instid1(VALU_DEP_2)
	v_lshlrev_b64_e32 v[45:46], 3, v[45:46]
	v_add_co_u32 v24, vcc_lo, s6, v22
	s_wait_alu 0xfffd
	s_delay_alu instid0(VALU_DEP_3)
	v_add_co_ci_u32_e64 v25, null, s7, v23, vcc_lo
	v_add_co_u32 v22, vcc_lo, s8, v22
	s_wait_alu 0xfffd
	v_add_co_ci_u32_e64 v23, null, s9, v23, vcc_lo
	global_load_b64 v[138:139], v[24:25], off
	global_load_b64 v[22:23], v[22:23], off
	s_wait_loadcnt 0x0
	scratch_store_b64 off, v[22:23], off offset:436 ; 8-byte Folded Spill
	v_fma_f64 v[22:23], v[138:139], 2.0, v[22:23]
	s_delay_alu instid0(VALU_DEP_1) | instskip(NEXT) | instid1(VALU_DEP_1)
	v_mul_f64_e32 v[22:23], v[22:23], v[18:19]
	v_mul_f64_e32 v[33:34], v[18:19], v[22:23]
	v_add_co_u32 v22, vcc_lo, s6, v20
	s_wait_alu 0xfffd
	v_add_co_ci_u32_e64 v23, null, s7, v21, vcc_lo
	v_add_co_u32 v20, vcc_lo, s8, v20
	s_wait_alu 0xfffd
	v_add_co_ci_u32_e64 v21, null, s9, v21, vcc_lo
	global_load_b64 v[41:42], v[22:23], off
	global_load_b64 v[20:21], v[20:21], off
	v_mul_f64_e32 v[35:36], v[14:15], v[33:34]
	s_wait_loadcnt 0x0
	v_fma_f64 v[24:25], v[41:42], 2.0, v[20:21]
	v_add_nc_u32_e32 v20, s17, v82
	s_delay_alu instid0(VALU_DEP_1) | instskip(NEXT) | instid1(VALU_DEP_1)
	v_ashrrev_i32_e32 v21, 31, v20
	v_lshlrev_b64_e32 v[56:57], 3, v[20:21]
	s_delay_alu instid0(VALU_DEP_1) | instskip(SKIP_1) | instid1(VALU_DEP_2)
	v_add_co_u32 v20, vcc_lo, s10, v56
	s_wait_alu 0xfffd
	v_add_co_ci_u32_e64 v21, null, s11, v57, vcc_lo
	v_add_co_u32 v43, vcc_lo, s6, v39
	s_wait_alu 0xfffd
	v_add_co_ci_u32_e64 v44, null, s7, v40, vcc_lo
	;; [unrolled: 3-line block ×3, first 2 shown]
	s_clause 0x1
	global_load_b64 v[78:79], v[20:21], off offset:16
	global_load_b128 v[20:23], v[20:21], off
	global_load_b64 v[109:110], v[43:44], off
	v_add_co_u32 v47, vcc_lo, s6, v45
	global_load_b64 v[39:40], v[39:40], off
	s_wait_alu 0xfffd
	v_add_co_ci_u32_e64 v48, null, s7, v46, vcc_lo
	v_add_co_u32 v45, vcc_lo, s8, v45
	s_wait_alu 0xfffd
	v_add_co_ci_u32_e64 v46, null, s9, v46, vcc_lo
	global_load_b64 v[92:93], v[47:48], off
	scratch_store_b64 off, v[56:57], off offset:32 ; 8-byte Folded Spill
	global_load_b64 v[45:46], v[45:46], off
	s_wait_loadcnt 0x4
	v_mul_f64_e32 v[24:25], v[24:25], v[20:21]
	s_wait_loadcnt 0x3
	v_dual_mov_b32 v131, v110 :: v_dual_mov_b32 v130, v109
	s_wait_loadcnt 0x2
	scratch_store_b64 off, v[39:40], off offset:484 ; 8-byte Folded Spill
	v_fma_f64 v[39:40], v[109:110], 2.0, v[39:40]
	s_wait_loadcnt 0x0
	scratch_store_b64 off, v[45:46], off offset:148 ; 8-byte Folded Spill
	v_fma_f64 v[45:46], v[92:93], 2.0, v[45:46]
	v_mul_f64_e32 v[24:25], v[20:21], v[24:25]
	scratch_store_b64 off, v[39:40], off offset:452 ; 8-byte Folded Spill
	v_mul_f64_e32 v[39:40], v[39:40], v[22:23]
	scratch_store_b64 off, v[45:46], off offset:164 ; 8-byte Folded Spill
	v_mul_f64_e32 v[45:46], v[45:46], v[78:79]
	v_mul_f64_e32 v[37:38], v[0:1], v[24:25]
	;; [unrolled: 1-line block ×4, first 2 shown]
	s_delay_alu instid0(VALU_DEP_4) | instskip(NEXT) | instid1(VALU_DEP_4)
	v_mul_f64_e32 v[45:46], v[78:79], v[45:46]
	v_fma_f64 v[47:48], v[12:13], v[31:32], v[37:38]
	v_fma_f64 v[33:34], v[14:15], v[33:34], v[37:38]
	s_delay_alu instid0(VALU_DEP_4) | instskip(NEXT) | instid1(VALU_DEP_3)
	v_mul_f64_e32 v[43:44], v[2:3], v[39:40]
	v_fma_f64 v[47:48], 0xbfe80000, v[47:48], v[35:36]
	s_delay_alu instid0(VALU_DEP_2) | instskip(NEXT) | instid1(VALU_DEP_1)
	v_fma_f64 v[31:32], v[12:13], v[31:32], v[43:44]
	v_fma_f64 v[54:55], 0x40080000, v[33:34], v[31:32]
	;; [unrolled: 1-line block ×4, first 2 shown]
	s_delay_alu instid0(VALU_DEP_1) | instskip(SKIP_1) | instid1(VALU_DEP_1)
	v_fma_f64 v[35:36], 0x40080000, v[33:34], v[31:32]
	v_fma_f64 v[31:32], v[90:91], v[45:46], v[37:38]
	v_fma_f64 v[43:44], 0xbfe80000, v[31:32], v[43:44]
	v_add_co_u32 v31, vcc_lo, s4, v56
	s_wait_alu 0xfffd
	v_add_co_ci_u32_e64 v32, null, s5, v57, vcc_lo
	s_clause 0x2
	global_load_b64 v[45:46], v[31:32], off offset:16
	global_load_b128 v[37:40], v[31:32], off
	global_load_b128 v[31:34], v[31:32], off offset:-16
	scratch_store_b64 off, v[78:79], off offset:180 ; 8-byte Folded Spill
	s_wait_loadcnt 0x0
	v_add_f64_e64 v[33:34], v[33:34], -v[37:38]
	v_add_f64_e64 v[31:32], v[31:32], -v[37:38]
	s_delay_alu instid0(VALU_DEP_2) | instskip(NEXT) | instid1(VALU_DEP_1)
	v_mul_f64_e32 v[33:34], v[54:55], v[33:34]
	v_fma_f64 v[31:32], v[47:48], v[31:32], v[33:34]
	v_add_f64_e64 v[33:34], v[39:40], -v[37:38]
	s_delay_alu instid0(VALU_DEP_1) | instskip(SKIP_1) | instid1(VALU_DEP_1)
	v_fma_f64 v[31:32], v[35:36], v[33:34], v[31:32]
	v_add_f64_e64 v[33:34], v[45:46], -v[37:38]
	v_fma_f64 v[31:32], v[43:44], v[33:34], v[31:32]
	v_mul_lo_u32 v33, v26, s16
	s_delay_alu instid0(VALU_DEP_1) | instskip(SKIP_3) | instid1(VALU_DEP_4)
	v_add_nc_u32_e32 v72, v29, v33
	v_add3_u32 v106, v33, v62, v29
	v_add_nc_u32_e32 v35, s16, v33
	v_mul_f64_e32 v[33:34], v[41:42], v[20:21]
	v_add_nc_u32_e32 v26, v72, v30
	s_delay_alu instid0(VALU_DEP_3) | instskip(SKIP_2) | instid1(VALU_DEP_4)
	v_add_nc_u32_e32 v66, v29, v35
	v_add3_u32 v107, v35, v62, v29
	v_lshl_add_u32 v35, s16, 1, v35
	v_ashrrev_i32_e32 v27, 31, v26
	s_delay_alu instid0(VALU_DEP_2) | instskip(NEXT) | instid1(VALU_DEP_2)
	v_add_nc_u32_e32 v67, v29, v35
	v_lshlrev_b64_e32 v[26:27], 3, v[26:27]
	v_add3_u32 v108, v35, v62, v29
	v_add_nc_u32_e32 v35, s16, v35
	s_delay_alu instid0(VALU_DEP_1) | instskip(SKIP_1) | instid1(VALU_DEP_1)
	v_add_nc_u32_e32 v73, v29, v35
	v_add3_u32 v151, v35, v62, v29
	v_add_nc_u32_e32 v29, s17, v151
	s_wait_alu 0xfffe
	v_mul_f64_e32 v[31:32], s[2:3], v[31:32]
	v_mul_f64_e32 v[41:42], v[20:21], v[33:34]
	v_add_nc_u32_e32 v20, v67, v30
	s_delay_alu instid0(VALU_DEP_1) | instskip(NEXT) | instid1(VALU_DEP_1)
	v_ashrrev_i32_e32 v21, 31, v20
	v_lshlrev_b64_e32 v[47:48], 3, v[20:21]
	v_fma_f64 v[39:40], v[142:143], v[31:32], 0
	v_add_co_u32 v31, vcc_lo, s6, v26
	s_wait_alu 0xfffd
	v_add_co_ci_u32_e64 v32, null, s7, v27, vcc_lo
	global_load_b64 v[100:101], v[31:32], off
	v_add_nc_u32_e32 v31, s17, v106
	v_mul_f64_e32 v[60:61], v[4:5], v[41:42]
	s_delay_alu instid0(VALU_DEP_2) | instskip(NEXT) | instid1(VALU_DEP_1)
	v_ashrrev_i32_e32 v32, 31, v31
	v_lshlrev_b64_e32 v[43:44], 3, v[31:32]
	s_delay_alu instid0(VALU_DEP_1) | instskip(SKIP_1) | instid1(VALU_DEP_2)
	v_add_co_u32 v31, vcc_lo, s10, v43
	s_wait_alu 0xfffd
	v_add_co_ci_u32_e64 v32, null, s11, v44, vcc_lo
	global_load_b64 v[64:65], v[31:32], off
	s_wait_loadcnt 0x0
	v_mul_f64_e32 v[31:32], v[100:101], v[64:65]
	s_delay_alu instid0(VALU_DEP_1) | instskip(SKIP_1) | instid1(VALU_DEP_1)
	v_mul_f64_e32 v[111:112], v[64:65], v[31:32]
	v_add_nc_u32_e32 v31, v66, v30
	v_ashrrev_i32_e32 v32, 31, v31
	s_delay_alu instid0(VALU_DEP_1) | instskip(NEXT) | instid1(VALU_DEP_1)
	v_lshlrev_b64_e32 v[45:46], 3, v[31:32]
	v_add_co_u32 v31, vcc_lo, s6, v45
	s_wait_alu 0xfffd
	s_delay_alu instid0(VALU_DEP_2) | instskip(SKIP_2) | instid1(VALU_DEP_1)
	v_add_co_ci_u32_e64 v32, null, s7, v46, vcc_lo
	global_load_b64 v[102:103], v[31:32], off
	v_add_nc_u32_e32 v31, s17, v107
	v_ashrrev_i32_e32 v32, 31, v31
	s_delay_alu instid0(VALU_DEP_1) | instskip(NEXT) | instid1(VALU_DEP_1)
	v_lshlrev_b64_e32 v[56:57], 3, v[31:32]
	v_add_co_u32 v31, vcc_lo, s10, v56
	s_wait_alu 0xfffd
	s_delay_alu instid0(VALU_DEP_2)
	v_add_co_ci_u32_e64 v32, null, s11, v57, vcc_lo
	v_add_co_u32 v20, vcc_lo, s6, v47
	s_wait_alu 0xfffd
	v_add_co_ci_u32_e64 v21, null, s7, v48, vcc_lo
	global_load_b64 v[96:97], v[31:32], off
	global_load_b64 v[68:69], v[20:21], off
	v_add_nc_u32_e32 v20, s17, v108
	s_delay_alu instid0(VALU_DEP_1) | instskip(NEXT) | instid1(VALU_DEP_1)
	v_ashrrev_i32_e32 v21, 31, v20
	v_lshlrev_b64_e32 v[70:71], 3, v[20:21]
	s_delay_alu instid0(VALU_DEP_1) | instskip(SKIP_1) | instid1(VALU_DEP_2)
	v_add_co_u32 v20, vcc_lo, s10, v70
	s_wait_alu 0xfffd
	v_add_co_ci_u32_e64 v21, null, s11, v71, vcc_lo
	global_load_b64 v[20:21], v[20:21], off
	s_wait_loadcnt 0x2
	v_mul_f64_e32 v[31:32], v[102:103], v[96:97]
	s_wait_loadcnt 0x0
	v_mul_f64_e32 v[33:34], v[68:69], v[20:21]
	s_delay_alu instid0(VALU_DEP_2) | instskip(NEXT) | instid1(VALU_DEP_2)
	v_mul_f64_e32 v[113:114], v[96:97], v[31:32]
	v_mul_f64_e32 v[115:116], v[20:21], v[33:34]
	v_add_nc_u32_e32 v33, v73, v30
	v_ashrrev_i32_e32 v30, 31, v29
	s_delay_alu instid0(VALU_DEP_2) | instskip(NEXT) | instid1(VALU_DEP_2)
	v_ashrrev_i32_e32 v34, 31, v33
	v_lshlrev_b64_e32 v[88:89], 3, v[29:30]
	s_delay_alu instid0(VALU_DEP_2)
	v_lshlrev_b64_e32 v[54:55], 3, v[33:34]
	v_mul_f64_e32 v[31:32], v[10:11], v[113:114]
	v_fma_f64 v[35:36], v[10:11], v[113:114], v[60:61]
	scratch_store_b64 off, v[113:114], off offset:420 ; 8-byte Folded Spill
	v_add_co_u32 v33, vcc_lo, s6, v54
	s_wait_alu 0xfffd
	v_add_co_ci_u32_e64 v34, null, s7, v55, vcc_lo
	v_add_co_u32 v29, vcc_lo, s10, v88
	s_wait_alu 0xfffd
	v_add_co_ci_u32_e64 v30, null, s11, v89, vcc_lo
	global_load_b64 v[104:105], v[33:34], off
	v_add_co_u32 v43, vcc_lo, s4, v43
	global_load_b64 v[98:99], v[29:30], off
	s_wait_alu 0xfffd
	v_add_co_ci_u32_e64 v44, null, s5, v44, vcc_lo
	v_add_co_u32 v56, vcc_lo, s4, v56
	s_wait_alu 0xfffd
	v_add_co_ci_u32_e64 v57, null, s5, v57, vcc_lo
	s_clause 0x1
	global_load_b64 v[43:44], v[43:44], off
	global_load_b64 v[56:57], v[56:57], off
	v_mul_f64_e32 v[86:87], v[6:7], v[115:116]
	scratch_store_b64 off, v[115:116], off offset:428 ; 8-byte Folded Spill
	s_wait_loadcnt 0x2
	v_mul_f64_e32 v[29:30], v[104:105], v[98:99]
	s_wait_loadcnt 0x1
	v_add_f64_e64 v[43:44], v[43:44], -v[37:38]
	s_wait_loadcnt 0x0
	v_add_f64_e64 v[56:57], v[56:57], -v[37:38]
	s_delay_alu instid0(VALU_DEP_3) | instskip(SKIP_1) | instid1(VALU_DEP_1)
	v_mul_f64_e32 v[62:63], v[98:99], v[29:30]
	v_fma_f64 v[29:30], v[8:9], v[111:112], v[60:61]
	v_fma_f64 v[33:34], 0xbfe80000, v[29:30], v[31:32]
	;; [unrolled: 1-line block ×3, first 2 shown]
	s_delay_alu instid0(VALU_DEP_1) | instskip(SKIP_2) | instid1(VALU_DEP_3)
	v_fma_f64 v[35:36], 0x40080000, v[35:36], v[29:30]
	v_fma_f64 v[29:30], v[94:95], v[62:63], v[31:32]
	;; [unrolled: 1-line block ×3, first 2 shown]
	v_mul_f64_e32 v[56:57], v[35:36], v[56:57]
	s_delay_alu instid0(VALU_DEP_2) | instskip(SKIP_1) | instid1(VALU_DEP_3)
	v_fma_f64 v[31:32], 0x40080000, v[31:32], v[29:30]
	v_fma_f64 v[29:30], v[94:95], v[62:63], v[60:61]
	;; [unrolled: 1-line block ×3, first 2 shown]
	v_add_co_u32 v56, vcc_lo, s4, v70
	s_wait_alu 0xfffd
	v_add_co_ci_u32_e64 v57, null, s5, v71, vcc_lo
	s_delay_alu instid0(VALU_DEP_4) | instskip(SKIP_3) | instid1(VALU_DEP_1)
	v_fma_f64 v[29:30], 0xbfe80000, v[29:30], v[86:87]
	global_load_b64 v[56:57], v[56:57], off
	s_wait_loadcnt 0x0
	v_add_f64_e64 v[56:57], v[56:57], -v[37:38]
	v_fma_f64 v[43:44], v[31:32], v[56:57], v[43:44]
	v_add_co_u32 v56, vcc_lo, s4, v88
	s_wait_alu 0xfffd
	v_add_co_ci_u32_e64 v57, null, s5, v89, vcc_lo
	global_load_b64 v[56:57], v[56:57], off
	s_wait_loadcnt 0x0
	v_add_f64_e64 v[37:38], v[56:57], -v[37:38]
	v_mul_f64_e32 v[56:57], v[0:1], v[41:42]
	s_delay_alu instid0(VALU_DEP_2) | instskip(NEXT) | instid1(VALU_DEP_1)
	v_fma_f64 v[37:38], v[29:30], v[37:38], v[43:44]
	v_mul_f64_e32 v[37:38], s[2:3], v[37:38]
	s_delay_alu instid0(VALU_DEP_1) | instskip(SKIP_1) | instid1(VALU_DEP_1)
	v_fma_f64 v[70:71], v[52:53], v[37:38], v[39:40]
	v_mul_f64_e32 v[37:38], v[126:127], v[16:17]
	v_mul_f64_e32 v[39:40], v[16:17], v[37:38]
	;; [unrolled: 1-line block ×3, first 2 shown]
	s_clause 0x2
	scratch_store_b64 off, v[111:112], off offset:412
	scratch_store_b64 off, v[62:63], off offset:228
	;; [unrolled: 1-line block ×3, first 2 shown]
	v_mul_f64_e32 v[86:87], v[18:19], v[37:38]
	v_mul_f64_e32 v[37:38], v[109:110], v[22:23]
	s_delay_alu instid0(VALU_DEP_2) | instskip(NEXT) | instid1(VALU_DEP_2)
	v_mul_f64_e32 v[43:44], v[14:15], v[86:87]
	v_mul_f64_e32 v[62:63], v[22:23], v[37:38]
	;; [unrolled: 1-line block ×3, first 2 shown]
	s_clause 0x1
	scratch_store_b64 off, v[92:93], off offset:156
	scratch_store_b64 off, v[86:87], off offset:132
	v_fma_f64 v[41:42], v[14:15], v[86:87], v[56:57]
	v_mul_f64_e32 v[60:61], v[2:3], v[62:63]
	v_mul_f64_e32 v[78:79], v[78:79], v[37:38]
	v_fma_f64 v[37:38], v[12:13], v[39:40], v[56:57]
	s_clause 0x2
	scratch_store_b64 off, v[62:63], off offset:124
	scratch_store_b64 off, v[90:91], off offset:48
	scratch_store_b64 off, v[78:79], off offset:220
	v_fma_f64 v[39:40], v[12:13], v[39:40], v[60:61]
	v_fma_f64 v[37:38], 0xbfe80000, v[37:38], v[43:44]
	s_delay_alu instid0(VALU_DEP_2) | instskip(SKIP_2) | instid1(VALU_DEP_1)
	v_fma_f64 v[39:40], 0x40080000, v[41:42], v[39:40]
	v_fma_f64 v[41:42], v[90:91], v[78:79], v[43:44]
	;; [unrolled: 1-line block ×5, first 2 shown]
	v_add_co_u32 v56, vcc_lo, v82, s26
	s_wait_alu 0xfffd
	v_add_co_ci_u32_e64 v57, null, s27, v84, vcc_lo
	s_delay_alu instid0(VALU_DEP_1) | instskip(NEXT) | instid1(VALU_DEP_1)
	v_lshlrev_b64_e32 v[56:57], 3, v[56:57]
	v_add_co_u32 v56, vcc_lo, s4, v56
	s_wait_alu 0xfffd
	s_delay_alu instid0(VALU_DEP_2) | instskip(SKIP_3) | instid1(VALU_DEP_1)
	v_add_co_ci_u32_e64 v57, null, s5, v57, vcc_lo
	global_load_b64 v[56:57], v[56:57], off offset:-16
	v_fma_f64 v[43:44], 0xbfe80000, v[43:44], v[60:61]
	v_add_nc_u32_e32 v60, s26, v82
	v_ashrrev_i32_e32 v61, 31, v60
	s_delay_alu instid0(VALU_DEP_1) | instskip(NEXT) | instid1(VALU_DEP_1)
	v_lshlrev_b64_e32 v[110:111], 3, v[60:61]
	v_add_co_u32 v90, vcc_lo, s4, v110
	s_wait_alu 0xfffd
	s_delay_alu instid0(VALU_DEP_2)
	v_add_co_ci_u32_e64 v91, null, s5, v111, vcc_lo
	v_add_co_u32 v26, vcc_lo, s8, v26
	s_wait_alu 0xfffd
	v_add_co_ci_u32_e64 v27, null, s9, v27, vcc_lo
	s_clause 0x1
	global_load_b128 v[86:89], v[90:91], off offset:8
	global_load_b128 v[90:93], v[90:91], off offset:-8
	v_add_co_u32 v45, vcc_lo, s8, v45
	global_load_b64 v[26:27], v[26:27], off
	s_wait_alu 0xfffd
	v_add_co_ci_u32_e64 v46, null, s9, v46, vcc_lo
	v_add_co_u32 v47, vcc_lo, s8, v47
	s_wait_alu 0xfffd
	v_add_co_ci_u32_e64 v48, null, s9, v48, vcc_lo
	v_add_co_u32 v54, vcc_lo, s8, v54
	s_wait_alu 0xfffd
	v_add_co_ci_u32_e64 v55, null, s9, v55, vcc_lo
	scratch_store_b64 off, v[100:101], off offset:80 ; 8-byte Folded Spill
	s_wait_loadcnt 0x0
	scratch_store_b64 off, v[26:27], off offset:8 ; 8-byte Folded Spill
	global_load_b64 v[45:46], v[45:46], off
	v_fma_f64 v[26:27], v[100:101], 2.0, v[26:27]
	scratch_store_b64 off, v[64:65], off offset:380 ; 8-byte Folded Spill
	v_add_f64_e64 v[90:91], v[90:91], -v[92:93]
	v_add_f64_e64 v[56:57], v[56:57], -v[92:93]
	;; [unrolled: 1-line block ×3, first 2 shown]
	scratch_store_b64 off, v[26:27], off offset:268 ; 8-byte Folded Spill
	v_mul_f64_e32 v[26:27], v[64:65], v[26:27]
	v_mul_f64_e32 v[90:91], v[39:40], v[90:91]
	scratch_store_b64 off, v[102:103], off offset:88 ; 8-byte Folded Spill
	s_wait_loadcnt 0x0
	scratch_store_b64 off, v[45:46], off    ; 8-byte Folded Spill
	global_load_b64 v[47:48], v[47:48], off
	v_fma_f64 v[45:46], v[102:103], 2.0, v[45:46]
	scratch_store_b64 off, v[96:97], off offset:56 ; 8-byte Folded Spill
	v_fma_f64 v[56:57], v[37:38], v[56:57], v[90:91]
	v_mul_f64_e32 v[26:27], v[64:65], v[26:27]
	scratch_store_b64 off, v[45:46], off offset:260 ; 8-byte Folded Spill
	v_mul_f64_e32 v[45:46], v[96:97], v[45:46]
	v_fma_f64 v[56:57], v[41:42], v[86:87], v[56:57]
	v_add_f64_e64 v[86:87], v[88:89], -v[92:93]
	v_fma_f64 v[90:91], v[8:9], v[26:27], v[24:25]
	scratch_store_b64 off, v[68:69], off offset:72 ; 8-byte Folded Spill
	s_wait_loadcnt 0x0
	scratch_store_b64 off, v[47:48], off offset:172 ; 8-byte Folded Spill
	v_fma_f64 v[47:48], v[68:69], 2.0, v[47:48]
	scratch_store_b64 off, v[20:21], off offset:64 ; 8-byte Folded Spill
	v_fma_f64 v[56:57], v[43:44], v[86:87], v[56:57]
	v_mul_f64_e32 v[45:46], v[96:97], v[45:46]
	scratch_store_b64 off, v[47:48], off offset:188 ; 8-byte Folded Spill
	v_mul_f64_e32 v[47:48], v[20:21], v[47:48]
	v_mul_f64_e32 v[56:57], s[2:3], v[56:57]
	s_delay_alu instid0(VALU_DEP_2)
	v_mul_f64_e32 v[47:48], v[20:21], v[47:48]
	global_load_b64 v[20:21], v[54:55], off
	v_fma_f64 v[86:87], v[142:143], v[56:57], 0
	v_mul_f64_e32 v[56:57], v[10:11], v[45:46]
	v_fma_f64 v[45:46], v[10:11], v[45:46], v[24:25]
	scratch_store_b64 off, v[104:105], off offset:96 ; 8-byte Folded Spill
	s_wait_loadcnt 0x0
	scratch_store_b64 off, v[20:21], off offset:16 ; 8-byte Folded Spill
	v_fma_f64 v[20:21], v[104:105], 2.0, v[20:21]
	v_mul_f64_e32 v[88:89], v[6:7], v[47:48]
	v_fma_f64 v[47:48], v[6:7], v[47:48], v[24:25]
	v_fma_f64 v[90:91], 0xbfe80000, v[90:91], v[56:57]
	s_clause 0x4
	scratch_store_b128 off, v[8:11], off offset:196
	scratch_store_b64 off, v[94:95], off offset:40
	scratch_store_b32 off, v106, off offset:104
	scratch_store_b32 off, v107, off offset:108
	;; [unrolled: 1-line block ×3, first 2 shown]
	v_mul_f64_e32 v[54:55], v[98:99], v[20:21]
	v_fma_f64 v[26:27], v[8:9], v[26:27], v[88:89]
	scratch_store_b64 off, v[20:21], off offset:244 ; 8-byte Folded Spill
	v_mul_f64_e32 v[54:55], v[98:99], v[54:55]
	v_fma_f64 v[26:27], 0x40080000, v[45:46], v[26:27]
	s_delay_alu instid0(VALU_DEP_2) | instskip(SKIP_3) | instid1(VALU_DEP_2)
	v_fma_f64 v[45:46], v[94:95], v[54:55], v[56:57]
	v_fma_f64 v[24:25], v[94:95], v[54:55], v[24:25]
	v_add_nc_u32_e32 v56, s26, v106
	v_add_nc_u32_e32 v54, s26, v107
	v_ashrrev_i32_e32 v57, 31, v56
	s_delay_alu instid0(VALU_DEP_2) | instskip(NEXT) | instid1(VALU_DEP_2)
	v_ashrrev_i32_e32 v55, 31, v54
	v_lshlrev_b64_e32 v[8:9], 3, v[56:57]
	scratch_store_b64 off, v[8:9], off offset:276 ; 8-byte Folded Spill
	v_fma_f64 v[45:46], 0x40080000, v[47:48], v[45:46]
	v_add_co_u32 v47, vcc_lo, s4, v8
	s_wait_alu 0xfffd
	v_add_co_ci_u32_e64 v48, null, s5, v9, vcc_lo
	v_lshlrev_b64_e32 v[8:9], 3, v[54:55]
	v_fma_f64 v[24:25], 0xbfe80000, v[24:25], v[88:89]
	global_load_b64 v[47:48], v[47:48], off
	v_add_co_u32 v88, vcc_lo, s4, v8
	s_wait_alu 0xfffd
	v_add_co_ci_u32_e64 v89, null, s5, v9, vcc_lo
	scratch_store_b64 off, v[8:9], off offset:284 ; 8-byte Folded Spill
	global_load_b64 v[88:89], v[88:89], off
	s_wait_loadcnt 0x1
	v_add_f64_e64 v[47:48], v[47:48], -v[92:93]
	s_wait_loadcnt 0x0
	v_add_f64_e64 v[88:89], v[88:89], -v[92:93]
	s_delay_alu instid0(VALU_DEP_1) | instskip(NEXT) | instid1(VALU_DEP_1)
	v_mul_f64_e32 v[26:27], v[88:89], v[26:27]
	v_fma_f64 v[26:27], v[47:48], v[90:91], v[26:27]
	v_add_nc_u32_e32 v47, s26, v108
	s_delay_alu instid0(VALU_DEP_1) | instskip(NEXT) | instid1(VALU_DEP_1)
	v_ashrrev_i32_e32 v48, 31, v47
	v_lshlrev_b64_e32 v[8:9], 3, v[47:48]
	s_clause 0x1
	scratch_store_b64 off, v[98:99], off offset:388
	scratch_store_b64 off, v[8:9], off offset:236
	v_add_co_u32 v88, vcc_lo, s4, v8
	s_wait_alu 0xfffd
	v_add_co_ci_u32_e64 v89, null, s5, v9, vcc_lo
	global_load_b64 v[88:89], v[88:89], off
	s_wait_loadcnt 0x0
	v_add_f64_e64 v[88:89], v[88:89], -v[92:93]
	s_delay_alu instid0(VALU_DEP_1) | instskip(SKIP_1) | instid1(VALU_DEP_1)
	v_fma_f64 v[26:27], v[88:89], v[45:46], v[26:27]
	v_add_nc_u32_e32 v45, s26, v151
	v_ashrrev_i32_e32 v46, 31, v45
	s_delay_alu instid0(VALU_DEP_1) | instskip(NEXT) | instid1(VALU_DEP_1)
	v_lshlrev_b64_e32 v[8:9], 3, v[45:46]
	v_add_co_u32 v88, vcc_lo, s4, v8
	s_wait_alu 0xfffd
	s_delay_alu instid0(VALU_DEP_2) | instskip(SKIP_4) | instid1(VALU_DEP_1)
	v_add_co_ci_u32_e64 v89, null, s5, v9, vcc_lo
	scratch_store_b64 off, v[8:9], off offset:252 ; 8-byte Folded Spill
	global_load_b64 v[88:89], v[88:89], off
	s_wait_loadcnt 0x0
	v_add_f64_e64 v[88:89], v[88:89], -v[92:93]
	v_fma_f64 v[24:25], v[88:89], v[24:25], v[26:27]
	s_delay_alu instid0(VALU_DEP_1) | instskip(NEXT) | instid1(VALU_DEP_1)
	v_mul_f64_e32 v[24:25], s[2:3], v[24:25]
	v_fma_f64 v[128:129], v[52:53], v[24:25], v[86:87]
	v_add_co_u32 v24, vcc_lo, v82, s29
	s_wait_alu 0xfffd
	v_add_co_ci_u32_e64 v25, null, s36, v84, vcc_lo
	s_delay_alu instid0(VALU_DEP_1) | instskip(NEXT) | instid1(VALU_DEP_1)
	v_lshlrev_b64_e32 v[24:25], 3, v[24:25]
	v_add_co_u32 v24, vcc_lo, s4, v24
	s_wait_alu 0xfffd
	s_delay_alu instid0(VALU_DEP_2) | instskip(SKIP_2) | instid1(VALU_DEP_1)
	v_add_co_ci_u32_e64 v25, null, s5, v25, vcc_lo
	global_load_b64 v[90:91], v[24:25], off offset:-16
	v_add_nc_u32_e32 v24, s17, v60
	v_ashrrev_i32_e32 v25, 31, v24
	s_delay_alu instid0(VALU_DEP_1) | instskip(NEXT) | instid1(VALU_DEP_1)
	v_lshlrev_b64_e32 v[97:98], 3, v[24:25]
	v_add_co_u32 v24, vcc_lo, s4, v97
	s_wait_alu 0xfffd
	s_delay_alu instid0(VALU_DEP_2)
	v_add_co_ci_u32_e64 v25, null, s5, v98, vcc_lo
	s_clause 0x1
	global_load_b128 v[86:89], v[24:25], off offset:8
	global_load_b128 v[24:27], v[24:25], off offset:-8
	s_wait_loadcnt 0x0
	v_add_f64_e64 v[24:25], v[24:25], -v[26:27]
	v_add_f64_e64 v[60:61], v[90:91], -v[26:27]
	s_delay_alu instid0(VALU_DEP_2) | instskip(SKIP_1) | instid1(VALU_DEP_1)
	v_mul_f64_e32 v[24:25], v[39:40], v[24:25]
	v_add_nc_u32_e32 v39, s17, v54
	v_ashrrev_i32_e32 v40, 31, v39
	s_delay_alu instid0(VALU_DEP_3) | instskip(SKIP_1) | instid1(VALU_DEP_1)
	v_fma_f64 v[24:25], v[37:38], v[60:61], v[24:25]
	v_add_f64_e64 v[37:38], v[86:87], -v[26:27]
	v_fma_f64 v[24:25], v[41:42], v[37:38], v[24:25]
	v_add_f64_e64 v[37:38], v[88:89], -v[26:27]
	v_add3_u32 v41, s35, s41, v80
	s_lshl_b32 s41, s39, 1
	s_mul_i32 s39, s39, 3
	s_wait_alu 0xfffe
	s_add_co_i32 s41, s34, s41
	s_add_co_i32 s39, s34, s39
	s_wait_alu 0xfffe
	s_sub_co_i32 s41, s41, s42
	s_wait_alu 0xfffe
	s_add_co_i32 s41, s41, -5
	s_wait_alu 0xfffe
	s_mul_i32 s41, s41, s37
	s_wait_alu 0xfffe
	v_add3_u32 v42, s35, s41, v80
	s_lshl_b32 s41, s38, 2
	s_wait_alu 0xfffe
	s_sub_co_i32 s39, s39, s41
	s_delay_alu instid0(SALU_CYCLE_1) | instskip(NEXT) | instid1(SALU_CYCLE_1)
	s_add_co_i32 s39, s39, -4
	s_mul_i32 s39, s39, s37
	s_delay_alu instid0(VALU_DEP_3) | instskip(SKIP_1) | instid1(VALU_DEP_1)
	v_fma_f64 v[24:25], v[43:44], v[37:38], v[24:25]
	v_add_nc_u32_e32 v37, s17, v56
	v_ashrrev_i32_e32 v38, 31, v37
	s_delay_alu instid0(VALU_DEP_1) | instskip(NEXT) | instid1(VALU_DEP_1)
	v_lshlrev_b64_e32 v[8:9], 3, v[37:38]
	v_add_co_u32 v37, vcc_lo, s4, v8
	scratch_store_b64 off, v[8:9], off offset:292 ; 8-byte Folded Spill
	s_wait_alu 0xfffd
	v_add_co_ci_u32_e64 v38, null, s5, v9, vcc_lo
	v_lshlrev_b64_e32 v[8:9], 3, v[39:40]
	global_load_b64 v[37:38], v[37:38], off
	v_add_co_u32 v39, vcc_lo, s4, v8
	s_wait_alu 0xfffd
	v_add_co_ci_u32_e64 v40, null, s5, v9, vcc_lo
	scratch_store_b64 off, v[8:9], off offset:308 ; 8-byte Folded Spill
	global_load_b64 v[39:40], v[39:40], off
	v_mul_f64_e32 v[24:25], s[2:3], v[24:25]
	s_delay_alu instid0(VALU_DEP_1) | instskip(SKIP_4) | instid1(VALU_DEP_1)
	v_fma_f64 v[24:25], v[142:143], v[24:25], 0
	s_wait_loadcnt 0x1
	v_add_f64_e64 v[37:38], v[37:38], -v[26:27]
	s_wait_loadcnt 0x0
	v_add_f64_e64 v[39:40], v[39:40], -v[26:27]
	v_mul_f64_e32 v[35:36], v[35:36], v[39:40]
	s_delay_alu instid0(VALU_DEP_1) | instskip(SKIP_1) | instid1(VALU_DEP_1)
	v_fma_f64 v[33:34], v[33:34], v[37:38], v[35:36]
	v_add_nc_u32_e32 v35, s17, v47
	v_ashrrev_i32_e32 v36, 31, v35
	s_delay_alu instid0(VALU_DEP_1) | instskip(NEXT) | instid1(VALU_DEP_1)
	v_lshlrev_b64_e32 v[8:9], 3, v[35:36]
	v_add_co_u32 v35, vcc_lo, s4, v8
	s_wait_alu 0xfffd
	s_delay_alu instid0(VALU_DEP_2) | instskip(SKIP_4) | instid1(VALU_DEP_1)
	v_add_co_ci_u32_e64 v36, null, s5, v9, vcc_lo
	scratch_store_b64 off, v[8:9], off offset:300 ; 8-byte Folded Spill
	global_load_b64 v[35:36], v[35:36], off
	s_wait_loadcnt 0x0
	v_add_f64_e64 v[35:36], v[35:36], -v[26:27]
	v_fma_f64 v[31:32], v[31:32], v[35:36], v[33:34]
	v_add_nc_u32_e32 v33, s17, v45
	s_delay_alu instid0(VALU_DEP_1) | instskip(NEXT) | instid1(VALU_DEP_1)
	v_ashrrev_i32_e32 v34, 31, v33
	v_lshlrev_b64_e32 v[8:9], 3, v[33:34]
	s_delay_alu instid0(VALU_DEP_1) | instskip(SKIP_1) | instid1(VALU_DEP_2)
	v_add_co_u32 v33, vcc_lo, s4, v8
	s_wait_alu 0xfffd
	v_add_co_ci_u32_e64 v34, null, s5, v9, vcc_lo
	scratch_store_b64 off, v[8:9], off offset:316 ; 8-byte Folded Spill
	global_load_b64 v[33:34], v[33:34], off
	s_wait_loadcnt 0x0
	v_add_f64_e64 v[26:27], v[33:34], -v[26:27]
	s_delay_alu instid0(VALU_DEP_1) | instskip(NEXT) | instid1(VALU_DEP_1)
	v_fma_f64 v[26:27], v[29:30], v[26:27], v[31:32]
	v_mul_f64_e32 v[26:27], s[2:3], v[26:27]
	s_add_co_i32 s2, s34, -7
	s_add_co_i32 s3, s34, -8
	s_wait_alu 0xfffe
	s_sub_co_i32 s38, s2, s38
	s_delay_alu instid0(SALU_CYCLE_1) | instskip(NEXT) | instid1(SALU_CYCLE_1)
	s_mul_i32 s38, s38, s37
	v_add3_u32 v43, s35, s38, v80
	s_delay_alu instid0(VALU_DEP_2) | instskip(SKIP_1) | instid1(VALU_DEP_1)
	v_fma_f64 v[158:159], v[52:53], v[26:27], v[24:25]
	v_add_nc_u32_e32 v24, s13, v85
	v_mad_co_u64_u32 v[8:9], null, v41, s16, v[24:25]
	v_mad_co_u64_u32 v[9:10], null, v42, s16, v[24:25]
	v_add3_u32 v25, s35, s39, v80
	s_mov_b32 s35, s2
	s_delay_alu instid0(VALU_DEP_1) | instskip(SKIP_2) | instid1(VALU_DEP_1)
	v_mad_co_u64_u32 v[10:11], null, v25, s16, v[24:25]
	v_mad_co_u64_u32 v[20:21], null, v43, s16, v[24:25]
	v_sub_nc_u32_e32 v25, s34, v81
	v_add_nc_u32_e32 v44, 0x17a, v25
.LBB4_2:                                ; =>This Loop Header: Depth=1
                                        ;     Child Loop BB4_3 Depth 2
	s_delay_alu instid0(VALU_DEP_3)
	v_dual_mov_b32 v26, 0 :: v_dual_add_nc_u32 v45, s33, v20
	v_mov_b32_e32 v31, 0
	v_mov_b32_e32 v35, 0
	;; [unrolled: 1-line block ×4, first 2 shown]
	v_dual_mov_b32 v37, 0 :: v_dual_add_nc_u32 v46, s33, v10
	v_mov_b32_e32 v27, 0
	v_dual_mov_b32 v32, 0 :: v_dual_add_nc_u32 v47, s33, v9
	v_dual_mov_b32 v39, v44 :: v_dual_add_nc_u32 v48, s33, v8
	v_mov_b32_e32 v36, 0
	v_mov_b32_e32 v34, 0
	;; [unrolled: 1-line block ×4, first 2 shown]
	s_mov_b32 s37, s3
.LBB4_3:                                ;   Parent Loop BB4_2 Depth=1
                                        ; =>  This Inner Loop Header: Depth=2
	v_add_nc_u32_e32 v54, s40, v45
	v_ashrrev_i32_e32 v40, 31, v39
	v_add_nc_u32_e32 v56, s40, v48
	v_add_nc_u32_e32 v60, s40, v47
	;; [unrolled: 1-line block ×3, first 2 shown]
	v_ashrrev_i32_e32 v55, 31, v54
	v_lshlrev_b64_e32 v[85:86], 3, v[39:40]
	v_ashrrev_i32_e32 v57, 31, v56
	v_ashrrev_i32_e32 v61, 31, v60
	;; [unrolled: 1-line block ×3, first 2 shown]
	v_lshlrev_b64_e32 v[54:55], 3, v[54:55]
	v_add_nc_u32_e32 v48, s24, v48
	v_lshlrev_b64_e32 v[56:57], 3, v[56:57]
	v_add_co_u32 v85, vcc_lo, s20, v85
	v_lshlrev_b64_e32 v[60:61], 3, v[60:61]
	s_wait_alu 0xfffd
	v_add_co_ci_u32_e64 v86, null, s21, v86, vcc_lo
	v_add_co_u32 v87, vcc_lo, s6, v54
	v_lshlrev_b64_e32 v[80:81], 3, v[80:81]
	s_wait_alu 0xfffd
	v_add_co_ci_u32_e64 v88, null, s7, v55, vcc_lo
	v_add_co_u32 v54, vcc_lo, s8, v54
	s_wait_alu 0xfffd
	v_add_co_ci_u32_e64 v55, null, s9, v55, vcc_lo
	v_add_co_u32 v56, vcc_lo, s10, v56
	;; [unrolled: 3-line block ×4, first 2 shown]
	s_wait_alu 0xfffd
	v_add_co_ci_u32_e64 v81, null, s11, v81, vcc_lo
	global_load_b64 v[87:88], v[87:88], off
	global_load_b64 v[54:55], v[54:55], off
	s_clause 0x2
	global_load_b64 v[56:57], v[56:57], off
	global_load_b64 v[60:61], v[60:61], off
	;; [unrolled: 1-line block ×4, first 2 shown]
	v_add_nc_u32_e32 v47, s24, v47
	v_add_nc_u32_e32 v46, s24, v46
	;; [unrolled: 1-line block ×3, first 2 shown]
	v_subrev_nc_u32_e32 v39, 48, v39
	s_wait_alu 0xfffe
	s_add_co_i32 s37, s37, 1
	s_wait_alu 0xfffe
	s_cmp_ge_i32 s37, s34
	s_wait_loadcnt 0x4
	v_fma_f64 v[89:90], v[87:88], 2.0, v[54:55]
	s_wait_loadcnt 0x3
	v_mul_f64_e32 v[91:92], v[0:1], v[56:57]
	v_add_f64_e32 v[54:55], v[87:88], v[54:55]
	s_wait_loadcnt 0x1
	v_mul_f64_e32 v[95:96], v[80:81], v[80:81]
	s_delay_alu instid0(VALU_DEP_4) | instskip(NEXT) | instid1(VALU_DEP_4)
	v_mul_f64_e32 v[93:94], v[89:90], v[60:61]
	v_mul_f64_e32 v[91:92], v[56:57], v[91:92]
	s_wait_loadcnt 0x0
	s_delay_alu instid0(VALU_DEP_4) | instskip(NEXT) | instid1(VALU_DEP_3)
	v_mul_f64_e32 v[54:55], v[85:86], v[54:55]
	v_mul_f64_e32 v[93:94], v[4:5], v[93:94]
	s_delay_alu instid0(VALU_DEP_3) | instskip(NEXT) | instid1(VALU_DEP_2)
	v_fma_f64 v[95:96], v[0:1], v[91:92], v[95:96]
	v_mul_f64_e32 v[93:94], v[60:61], v[93:94]
	s_delay_alu instid0(VALU_DEP_2) | instskip(NEXT) | instid1(VALU_DEP_1)
	v_mul_f64_e32 v[95:96], v[87:88], v[95:96]
	v_fma_f64 v[93:94], v[4:5], v[93:94], v[95:96]
	v_mul_f64_e32 v[95:96], v[4:5], v[60:61]
	s_delay_alu instid0(VALU_DEP_2) | instskip(NEXT) | instid1(VALU_DEP_2)
	v_fma_f64 v[31:32], v[85:86], v[93:94], v[31:32]
	v_mul_f64_e32 v[95:96], v[60:61], v[95:96]
	s_delay_alu instid0(VALU_DEP_1) | instskip(NEXT) | instid1(VALU_DEP_1)
	v_mul_f64_e32 v[95:96], v[4:5], v[95:96]
	v_fma_f64 v[91:92], v[0:1], v[91:92], v[95:96]
	v_fma_f64 v[95:96], v[80:81], v[80:81], v[95:96]
	s_delay_alu instid0(VALU_DEP_1) | instskip(NEXT) | instid1(VALU_DEP_3)
	v_mul_f64_e32 v[95:96], v[87:88], v[95:96]
	v_mul_f64_e32 v[87:88], v[87:88], v[91:92]
	;; [unrolled: 1-line block ×4, first 2 shown]
	s_delay_alu instid0(VALU_DEP_2) | instskip(NEXT) | instid1(VALU_DEP_2)
	v_mul_f64_e32 v[91:92], v[0:1], v[91:92]
	v_fma_f64 v[87:88], v[80:81], v[89:90], v[87:88]
	s_delay_alu instid0(VALU_DEP_2) | instskip(SKIP_2) | instid1(VALU_DEP_4)
	v_mul_f64_e32 v[91:92], v[56:57], v[91:92]
	v_mul_f64_e32 v[56:57], v[56:57], v[54:55]
	;; [unrolled: 1-line block ×3, first 2 shown]
	v_fma_f64 v[26:27], v[85:86], v[87:88], v[26:27]
	s_delay_alu instid0(VALU_DEP_4) | instskip(NEXT) | instid1(VALU_DEP_4)
	v_fma_f64 v[91:92], v[0:1], v[91:92], v[95:96]
	v_fma_f64 v[29:30], v[60:61], v[56:57], v[29:30]
	;; [unrolled: 1-line block ×4, first 2 shown]
	s_delay_alu instid0(VALU_DEP_4)
	v_fma_f64 v[37:38], v[85:86], v[91:92], v[37:38]
	s_cbranch_scc0 .LBB4_3
; %bb.4:                                ;   in Loop: Header=BB4_2 Depth=1
	s_delay_alu instid0(VALU_DEP_4) | instskip(SKIP_1) | instid1(VALU_DEP_4)
	v_mad_co_u64_u32 v[39:40], null, s35, s24, v[28:29]
	v_mul_f64_e32 v[31:32], v[58:59], v[31:32]
	v_mul_f64_e32 v[35:36], v[52:53], v[35:36]
	s_delay_alu instid0(VALU_DEP_4)
	v_mul_f64_e32 v[37:38], v[58:59], v[37:38]
	v_mul_f64_e32 v[33:34], v[142:143], v[33:34]
	;; [unrolled: 1-line block ×3, first 2 shown]
	v_add_nc_u32_e32 v44, -6, v44
	v_add_nc_u32_e32 v45, s17, v39
	v_ashrrev_i32_e32 v40, 31, v39
	s_add_co_i32 s37, s35, 1
	s_cmp_ge_i32 s35, s34
	s_delay_alu instid0(VALU_DEP_2) | instskip(SKIP_2) | instid1(VALU_DEP_3)
	v_ashrrev_i32_e32 v46, 31, v45
	v_add_nc_u32_e32 v54, s17, v45
	v_lshlrev_b64_e32 v[39:40], 3, v[39:40]
	v_lshlrev_b64_e32 v[46:47], 3, v[45:46]
	s_delay_alu instid0(VALU_DEP_3) | instskip(NEXT) | instid1(VALU_DEP_1)
	v_ashrrev_i32_e32 v55, 31, v54
	v_lshlrev_b64_e32 v[54:55], 3, v[54:55]
	s_delay_alu instid0(VALU_DEP_3) | instskip(SKIP_1) | instid1(VALU_DEP_4)
	v_add_co_u32 v46, vcc_lo, s4, v46
	s_wait_alu 0xfffd
	v_add_co_ci_u32_e64 v47, null, s5, v47, vcc_lo
	s_delay_alu instid0(VALU_DEP_3)
	v_add_co_u32 v54, vcc_lo, s4, v54
	global_load_b64 v[46:47], v[46:47], off
	s_wait_alu 0xfffd
	v_add_co_ci_u32_e64 v55, null, s5, v55, vcc_lo
	v_add_co_u32 v39, vcc_lo, s4, v39
	s_wait_alu 0xfffd
	v_add_co_ci_u32_e64 v40, null, s5, v40, vcc_lo
	s_clause 0x1
	global_load_b64 v[54:55], v[54:55], off
	global_load_b64 v[39:40], v[39:40], off
	s_wait_loadcnt 0x2
	v_mul_f64_e32 v[56:57], v[29:30], v[46:47]
	v_mul_f64_e32 v[31:32], v[31:32], v[46:47]
	;; [unrolled: 1-line block ×3, first 2 shown]
	s_wait_loadcnt 0x0
	s_delay_alu instid0(VALU_DEP_3) | instskip(NEXT) | instid1(VALU_DEP_3)
	v_fma_f64 v[37:38], v[37:38], v[39:40], v[56:57]
	v_fma_f64 v[29:30], v[29:30], v[39:40], v[31:32]
	s_delay_alu instid0(VALU_DEP_3) | instskip(NEXT) | instid1(VALU_DEP_3)
	v_fma_f64 v[31:32], v[33:34], v[39:40], v[45:46]
	v_fma_f64 v[33:34], v[33:34], v[54:55], v[37:38]
	;; [unrolled: 3-line block ×3, first 2 shown]
	s_delay_alu instid0(VALU_DEP_3) | instskip(NEXT) | instid1(VALU_DEP_3)
	v_add_f64_e32 v[70:71], v[70:71], v[33:34]
	v_add_f64_e32 v[128:129], v[128:129], v[29:30]
	s_delay_alu instid0(VALU_DEP_3)
	v_add_f64_e32 v[158:159], v[158:159], v[26:27]
	s_cbranch_scc1 .LBB4_6
; %bb.5:                                ;   in Loop: Header=BB4_2 Depth=1
	s_wait_alu 0xfffe
	s_mov_b32 s35, s37
	s_branch .LBB4_2
.LBB4_6:
	v_ashrrev_i32_e32 v26, 31, v25
	s_clause 0x3
	scratch_store_b64 off, v[20:21], off offset:532
	scratch_store_b64 off, v[10:11], off offset:508
	;; [unrolled: 1-line block ×4, first 2 shown]
	s_mul_i32 s20, s34, s24
	v_add_nc_u32_e32 v176, 42, v25
	v_add_nc_u32_e32 v30, s28, v74
	v_lshlrev_b64_e32 v[32:33], 3, v[25:26]
	v_dual_mov_b32 v108, 0 :: v_dual_add_nc_u32 v27, s28, v75
	v_dual_mov_b32 v132, 0 :: v_dual_add_nc_u32 v31, s28, v77
	v_mov_b32_e32 v109, 0
	s_delay_alu instid0(VALU_DEP_4)
	v_add_co_u32 v32, vcc_lo, s22, v32
	s_wait_alu 0xfffd
	v_add_co_ci_u32_e64 v33, null, s23, v33, vcc_lo
	v_add_nc_u32_e32 v26, v73, v31
	v_dual_mov_b32 v134, 0 :: v_dual_add_nc_u32 v37, v72, v30
	global_load_b64 v[8:9], v[32:33], off
	s_wait_alu 0xfffe
	v_dual_mov_b32 v25, v176 :: v_dual_add_nc_u32 v32, s20, v28
	v_dual_mov_b32 v135, 0 :: v_dual_add_nc_u32 v28, v73, v30
	v_add_nc_u32_e32 v29, s28, v76
	s_delay_alu instid0(VALU_DEP_3) | instskip(SKIP_2) | instid1(VALU_DEP_3)
	v_ashrrev_i32_e32 v33, 31, v32
	v_dual_mov_b32 v76, 0 :: v_dual_add_nc_u32 v39, v72, v27
	v_dual_mov_b32 v86, 0 :: v_dual_add_nc_u32 v47, v66, v31
	v_lshlrev_b64_e32 v[33:34], 3, v[32:33]
	v_dual_mov_b32 v183, 0 :: v_dual_add_nc_u32 v32, s24, v32
	v_mov_b32_e32 v184, 0
	v_mov_b32_e32 v140, 0
	v_add_nc_u32_e32 v38, v72, v29
	v_add_co_u32 v35, vcc_lo, s6, v33
	s_wait_alu 0xfffd
	v_add_co_ci_u32_e64 v36, null, s7, v34, vcc_lo
	v_add_co_u32 v33, vcc_lo, s8, v33
	s_wait_alu 0xfffd
	v_add_co_ci_u32_e64 v34, null, s9, v34, vcc_lo
	v_add_nc_u32_e32 v40, v67, v31
	v_add_nc_u32_e32 v44, v67, v30
	;; [unrolled: 1-line block ×3, first 2 shown]
	global_load_b64 v[10:11], v[33:34], off
	v_add3_u32 v33, s26, s20, v83
	v_add_nc_u32_e32 v46, v67, v27
	s_mul_i32 s2, s24, s2
	s_mov_b32 s20, s3
	v_mov_b32_e32 v148, 0
	v_ashrrev_i32_e32 v34, 31, v33
	v_dual_mov_b32 v87, 0 :: v_dual_mov_b32 v74, 0
	v_mov_b32_e32 v75, 0
	v_mov_b32_e32 v133, 0
	;; [unrolled: 1-line block ×4, first 2 shown]
	v_dual_mov_b32 v77, 0 :: v_dual_mov_b32 v186, 0
	v_mov_b32_e32 v187, 0
	v_dual_mov_b32 v188, 0 :: v_dual_mov_b32 v141, 0
	s_wait_loadcnt 0x1
	scratch_store_b64 off, v[8:9], off offset:324 ; 8-byte Folded Spill
	global_load_b64 v[8:9], v[35:36], off
	v_lshlrev_b64_e32 v[34:35], 3, v[33:34]
	v_add_nc_u32_e32 v33, s17, v33
	v_add_nc_u32_e32 v36, v72, v31
	s_delay_alu instid0(VALU_DEP_3) | instskip(SKIP_1) | instid1(VALU_DEP_4)
	v_add_co_u32 v34, vcc_lo, s10, v34
	s_wait_alu 0xfffd
	v_add_co_ci_u32_e64 v35, null, s11, v35, vcc_lo
	s_wait_loadcnt 0x1
	scratch_store_b64 off, v[10:11], off offset:332 ; 8-byte Folded Spill
	s_wait_loadcnt 0x0
	scratch_store_b64 off, v[8:9], off offset:364 ; 8-byte Folded Spill
	global_load_b64 v[8:9], v[34:35], off
	v_ashrrev_i32_e32 v34, 31, v33
	s_delay_alu instid0(VALU_DEP_1) | instskip(SKIP_1) | instid1(VALU_DEP_2)
	v_lshlrev_b64_e32 v[34:35], 3, v[33:34]
	v_add_nc_u32_e32 v33, s17, v33
	v_add_co_u32 v34, vcc_lo, s10, v34
	s_wait_alu 0xfffd
	s_delay_alu instid0(VALU_DEP_3) | instskip(SKIP_4) | instid1(VALU_DEP_1)
	v_add_co_ci_u32_e64 v35, null, s11, v35, vcc_lo
	s_wait_loadcnt 0x0
	scratch_store_b64 off, v[8:9], off offset:372 ; 8-byte Folded Spill
	global_load_b64 v[8:9], v[34:35], off
	v_ashrrev_i32_e32 v34, 31, v33
	v_lshlrev_b64_e32 v[33:34], 3, v[33:34]
	s_delay_alu instid0(VALU_DEP_1) | instskip(SKIP_1) | instid1(VALU_DEP_2)
	v_add_co_u32 v33, vcc_lo, s10, v33
	s_wait_alu 0xfffd
	v_add_co_ci_u32_e64 v34, null, s11, v34, vcc_lo
	s_wait_loadcnt 0x0
	scratch_store_b64 off, v[8:9], off offset:396 ; 8-byte Folded Spill
	global_load_b64 v[8:9], v[33:34], off
	v_ashrrev_i32_e32 v33, 31, v32
	s_delay_alu instid0(VALU_DEP_1) | instskip(SKIP_1) | instid1(VALU_DEP_2)
	v_lshlrev_b64_e32 v[33:34], 3, v[32:33]
	v_add_nc_u32_e32 v32, s17, v32
	v_add_co_u32 v33, vcc_lo, s4, v33
	s_wait_alu 0xfffd
	s_delay_alu instid0(VALU_DEP_3) | instskip(SKIP_2) | instid1(VALU_DEP_1)
	v_add_co_ci_u32_e64 v34, null, s5, v34, vcc_lo
	global_load_b64 v[10:11], v[33:34], off
	v_ashrrev_i32_e32 v33, 31, v32
	v_lshlrev_b64_e32 v[33:34], 3, v[32:33]
	v_add_nc_u32_e32 v32, s17, v32
	s_delay_alu instid0(VALU_DEP_2) | instskip(SKIP_1) | instid1(VALU_DEP_3)
	v_add_co_u32 v33, vcc_lo, s4, v33
	s_wait_alu 0xfffd
	v_add_co_ci_u32_e64 v34, null, s5, v34, vcc_lo
	s_wait_loadcnt 0x0
	scratch_store_b64 off, v[10:11], off offset:348 ; 8-byte Folded Spill
	global_load_b64 v[10:11], v[33:34], off
	v_ashrrev_i32_e32 v33, 31, v32
	s_delay_alu instid0(VALU_DEP_1) | instskip(NEXT) | instid1(VALU_DEP_1)
	v_lshlrev_b64_e32 v[32:33], 3, v[32:33]
	v_add_co_u32 v32, vcc_lo, s4, v32
	s_wait_alu 0xfffd
	s_delay_alu instid0(VALU_DEP_2)
	v_add_co_ci_u32_e64 v33, null, s5, v33, vcc_lo
	s_wait_loadcnt 0x0
	scratch_store_b64 off, v[10:11], off offset:356 ; 8-byte Folded Spill
	global_load_b64 v[10:11], v[32:33], off
	v_add_nc_u32_e32 v32, s26, v26
	scratch_store_b64 off, v[8:9], off offset:404 ; 8-byte Folded Spill
	v_add_nc_u32_e32 v26, s17, v26
	v_ashrrev_i32_e32 v33, 31, v32
	s_delay_alu instid0(VALU_DEP_1) | instskip(NEXT) | instid1(VALU_DEP_1)
	v_lshlrev_b64_e32 v[32:33], 3, v[32:33]
	v_add_co_u32 v32, vcc_lo, s4, v32
	s_wait_alu 0xfffd
	s_delay_alu instid0(VALU_DEP_2) | instskip(SKIP_2) | instid1(VALU_DEP_1)
	v_add_co_ci_u32_e64 v33, null, s5, v33, vcc_lo
	global_load_b64 v[8:9], v[32:33], off
	v_add_nc_u32_e32 v32, s26, v28
	v_ashrrev_i32_e32 v33, 31, v32
	s_delay_alu instid0(VALU_DEP_1) | instskip(NEXT) | instid1(VALU_DEP_1)
	v_lshlrev_b64_e32 v[32:33], 3, v[32:33]
	v_add_co_u32 v32, vcc_lo, s4, v32
	s_wait_alu 0xfffd
	s_delay_alu instid0(VALU_DEP_2) | instskip(SKIP_2) | instid1(VALU_DEP_1)
	v_add_co_ci_u32_e64 v33, null, s5, v33, vcc_lo
	global_load_b64 v[90:91], v[32:33], off
	v_add_nc_u32_e32 v32, v73, v29
	v_add_nc_u32_e32 v33, s26, v32
	s_delay_alu instid0(VALU_DEP_1) | instskip(NEXT) | instid1(VALU_DEP_1)
	v_ashrrev_i32_e32 v34, 31, v33
	v_lshlrev_b64_e32 v[33:34], 3, v[33:34]
	s_delay_alu instid0(VALU_DEP_1) | instskip(SKIP_1) | instid1(VALU_DEP_2)
	v_add_co_u32 v33, vcc_lo, s4, v33
	s_wait_alu 0xfffd
	v_add_co_ci_u32_e64 v34, null, s5, v34, vcc_lo
	global_load_b64 v[50:51], v[33:34], off
	v_add_nc_u32_e32 v33, v73, v27
	s_delay_alu instid0(VALU_DEP_1) | instskip(NEXT) | instid1(VALU_DEP_1)
	v_add_nc_u32_e32 v34, s26, v33
	v_ashrrev_i32_e32 v35, 31, v34
	s_delay_alu instid0(VALU_DEP_1) | instskip(NEXT) | instid1(VALU_DEP_1)
	v_lshlrev_b64_e32 v[34:35], 3, v[34:35]
	v_add_co_u32 v34, vcc_lo, s4, v34
	s_wait_alu 0xfffd
	s_delay_alu instid0(VALU_DEP_2) | instskip(SKIP_2) | instid1(VALU_DEP_1)
	v_add_co_ci_u32_e64 v35, null, s5, v35, vcc_lo
	global_load_b64 v[181:182], v[34:35], off
	v_add_nc_u32_e32 v34, s26, v36
	v_ashrrev_i32_e32 v35, 31, v34
	s_delay_alu instid0(VALU_DEP_1) | instskip(NEXT) | instid1(VALU_DEP_1)
	v_lshlrev_b64_e32 v[34:35], 3, v[34:35]
	v_add_co_u32 v34, vcc_lo, s4, v34
	s_wait_alu 0xfffd
	s_delay_alu instid0(VALU_DEP_2) | instskip(SKIP_2) | instid1(VALU_DEP_1)
	v_add_co_ci_u32_e64 v35, null, s5, v35, vcc_lo
	global_load_b64 v[64:65], v[34:35], off
	;; [unrolled: 9-line block ×9, first 2 shown]
	v_add_nc_u32_e32 v34, s26, v47
	v_ashrrev_i32_e32 v35, 31, v34
	s_delay_alu instid0(VALU_DEP_1) | instskip(NEXT) | instid1(VALU_DEP_1)
	v_lshlrev_b64_e32 v[34:35], 3, v[34:35]
	v_add_co_u32 v34, vcc_lo, s4, v34
	s_wait_alu 0xfffd
	s_delay_alu instid0(VALU_DEP_2)
	v_add_co_ci_u32_e64 v35, null, s5, v35, vcc_lo
	s_wait_loadcnt 0xc
	scratch_store_b64 off, v[10:11], off offset:340 ; 8-byte Folded Spill
	global_load_b64 v[177:178], v[34:35], off
	v_add_nc_u32_e32 v34, v66, v30
	v_add_nc_u32_e32 v35, v66, v27
	v_ashrrev_i32_e32 v27, 31, v26
	s_delay_alu instid0(VALU_DEP_3) | instskip(NEXT) | instid1(VALU_DEP_2)
	v_add_nc_u32_e32 v30, s26, v34
	v_lshlrev_b64_e32 v[26:27], 3, v[26:27]
	s_delay_alu instid0(VALU_DEP_2) | instskip(NEXT) | instid1(VALU_DEP_1)
	v_ashrrev_i32_e32 v31, 31, v30
	v_lshlrev_b64_e32 v[30:31], 3, v[30:31]
	s_delay_alu instid0(VALU_DEP_1) | instskip(SKIP_1) | instid1(VALU_DEP_2)
	v_add_co_u32 v30, vcc_lo, s4, v30
	s_wait_alu 0xfffd
	v_add_co_ci_u32_e64 v31, null, s5, v31, vcc_lo
	s_wait_loadcnt 0xc
	scratch_store_b64 off, v[8:9], off offset:444 ; 8-byte Folded Spill
	global_load_b64 v[160:161], v[30:31], off
	v_dual_mov_b32 v66, 0 :: v_dual_add_nc_u32 v31, v66, v29
	v_mov_b32_e32 v67, 0
	s_delay_alu instid0(VALU_DEP_2) | instskip(NEXT) | instid1(VALU_DEP_1)
	v_add_nc_u32_e32 v29, s26, v31
	v_ashrrev_i32_e32 v30, 31, v29
	s_delay_alu instid0(VALU_DEP_1) | instskip(NEXT) | instid1(VALU_DEP_1)
	v_lshlrev_b64_e32 v[29:30], 3, v[29:30]
	v_add_co_u32 v29, vcc_lo, s4, v29
	s_wait_alu 0xfffd
	s_delay_alu instid0(VALU_DEP_2) | instskip(SKIP_2) | instid1(VALU_DEP_1)
	v_add_co_ci_u32_e64 v30, null, s5, v30, vcc_lo
	global_load_b64 v[58:59], v[29:30], off
	v_add_nc_u32_e32 v29, s26, v35
	v_ashrrev_i32_e32 v30, 31, v29
	s_delay_alu instid0(VALU_DEP_1) | instskip(NEXT) | instid1(VALU_DEP_1)
	v_lshlrev_b64_e32 v[29:30], 3, v[29:30]
	v_add_co_u32 v29, vcc_lo, s4, v29
	s_wait_alu 0xfffd
	s_delay_alu instid0(VALU_DEP_2)
	v_add_co_ci_u32_e64 v30, null, s5, v30, vcc_lo
	v_add_co_u32 v26, vcc_lo, s4, v26
	s_wait_alu 0xfffd
	v_add_co_ci_u32_e64 v27, null, s5, v27, vcc_lo
	s_clause 0x1
	global_load_b64 v[68:69], v[29:30], off
	global_load_b64 v[8:9], v[26:27], off
	v_add_nc_u32_e32 v26, s17, v28
	s_delay_alu instid0(VALU_DEP_1) | instskip(NEXT) | instid1(VALU_DEP_1)
	v_ashrrev_i32_e32 v27, 31, v26
	v_lshlrev_b64_e32 v[26:27], 3, v[26:27]
	s_delay_alu instid0(VALU_DEP_1) | instskip(SKIP_1) | instid1(VALU_DEP_2)
	v_add_co_u32 v26, vcc_lo, s4, v26
	s_wait_alu 0xfffd
	v_add_co_ci_u32_e64 v27, null, s5, v27, vcc_lo
	s_wait_loadcnt 0x0
	scratch_store_b64 off, v[8:9], off offset:492 ; 8-byte Folded Spill
	global_load_b64 v[8:9], v[26:27], off
	v_add_nc_u32_e32 v26, s17, v32
	s_delay_alu instid0(VALU_DEP_1) | instskip(NEXT) | instid1(VALU_DEP_1)
	v_ashrrev_i32_e32 v27, 31, v26
	v_lshlrev_b64_e32 v[26:27], 3, v[26:27]
	s_delay_alu instid0(VALU_DEP_1) | instskip(SKIP_1) | instid1(VALU_DEP_2)
	v_add_co_u32 v26, vcc_lo, s4, v26
	s_wait_alu 0xfffd
	v_add_co_ci_u32_e64 v27, null, s5, v27, vcc_lo
	global_load_b64 v[94:95], v[26:27], off
	v_add_nc_u32_e32 v26, s17, v33
	s_delay_alu instid0(VALU_DEP_1) | instskip(NEXT) | instid1(VALU_DEP_1)
	v_ashrrev_i32_e32 v27, 31, v26
	v_lshlrev_b64_e32 v[26:27], 3, v[26:27]
	s_delay_alu instid0(VALU_DEP_1) | instskip(SKIP_1) | instid1(VALU_DEP_2)
	v_add_co_u32 v26, vcc_lo, s4, v26
	s_wait_alu 0xfffd
	v_add_co_ci_u32_e64 v27, null, s5, v27, vcc_lo
	;; [unrolled: 9-line block ×3, first 2 shown]
	s_wait_loadcnt 0x2
	scratch_store_b64 off, v[8:9], off offset:500 ; 8-byte Folded Spill
	global_load_b64 v[8:9], v[26:27], off
	v_add_nc_u32_e32 v26, s17, v37
	s_delay_alu instid0(VALU_DEP_1) | instskip(NEXT) | instid1(VALU_DEP_1)
	v_ashrrev_i32_e32 v27, 31, v26
	v_lshlrev_b64_e32 v[26:27], 3, v[26:27]
	s_delay_alu instid0(VALU_DEP_1) | instskip(SKIP_1) | instid1(VALU_DEP_2)
	v_add_co_u32 v26, vcc_lo, s4, v26
	s_wait_alu 0xfffd
	v_add_co_ci_u32_e64 v27, null, s5, v27, vcc_lo
	s_wait_loadcnt 0x0
	scratch_store_b64 off, v[8:9], off offset:524 ; 8-byte Folded Spill
	global_load_b64 v[8:9], v[26:27], off
	v_add_nc_u32_e32 v26, s17, v38
	s_delay_alu instid0(VALU_DEP_1) | instskip(NEXT) | instid1(VALU_DEP_1)
	v_ashrrev_i32_e32 v27, 31, v26
	v_lshlrev_b64_e32 v[26:27], 3, v[26:27]
	s_delay_alu instid0(VALU_DEP_1) | instskip(SKIP_1) | instid1(VALU_DEP_2)
	v_add_co_u32 v26, vcc_lo, s4, v26
	s_wait_alu 0xfffd
	v_add_co_ci_u32_e64 v27, null, s5, v27, vcc_lo
	global_load_b64 v[62:63], v[26:27], off
	v_add_nc_u32_e32 v26, s17, v39
	s_delay_alu instid0(VALU_DEP_1) | instskip(NEXT) | instid1(VALU_DEP_1)
	v_ashrrev_i32_e32 v27, 31, v26
	v_lshlrev_b64_e32 v[26:27], 3, v[26:27]
	s_delay_alu instid0(VALU_DEP_1) | instskip(SKIP_1) | instid1(VALU_DEP_2)
	v_add_co_u32 v26, vcc_lo, s4, v26
	s_wait_alu 0xfffd
	v_add_co_ci_u32_e64 v27, null, s5, v27, vcc_lo
	;; [unrolled: 9-line block ×3, first 2 shown]
	s_wait_loadcnt 0x2
	scratch_store_b64 off, v[8:9], off offset:540 ; 8-byte Folded Spill
	global_load_b64 v[8:9], v[26:27], off
	v_add_nc_u32_e32 v26, s17, v44
	s_delay_alu instid0(VALU_DEP_1) | instskip(NEXT) | instid1(VALU_DEP_1)
	v_ashrrev_i32_e32 v27, 31, v26
	v_lshlrev_b64_e32 v[26:27], 3, v[26:27]
	s_delay_alu instid0(VALU_DEP_1) | instskip(SKIP_1) | instid1(VALU_DEP_2)
	v_add_co_u32 v26, vcc_lo, s4, v26
	s_wait_alu 0xfffd
	v_add_co_ci_u32_e64 v27, null, s5, v27, vcc_lo
	s_wait_loadcnt 0x0
	scratch_store_b64 off, v[8:9], off offset:548 ; 8-byte Folded Spill
	global_load_b64 v[8:9], v[26:27], off
	v_add_nc_u32_e32 v26, s17, v45
	s_delay_alu instid0(VALU_DEP_1) | instskip(NEXT) | instid1(VALU_DEP_1)
	v_ashrrev_i32_e32 v27, 31, v26
	v_lshlrev_b64_e32 v[26:27], 3, v[26:27]
	s_delay_alu instid0(VALU_DEP_1) | instskip(SKIP_1) | instid1(VALU_DEP_2)
	v_add_co_u32 v26, vcc_lo, s4, v26
	s_wait_alu 0xfffd
	v_add_co_ci_u32_e64 v27, null, s5, v27, vcc_lo
	;; [unrolled: 11-line block ×7, first 2 shown]
	global_load_b64 v[78:79], v[26:27], off
	s_wait_loadcnt 0x1
	scratch_store_b64 off, v[8:9], off offset:564 ; 8-byte Folded Spill
.LBB4_7:                                ; =>This Inner Loop Header: Depth=1
	v_ashrrev_i32_e32 v27, 31, v83
	s_wait_alu 0xfffe
	s_ashr_i32 s21, s2, 31
	v_add_co_u32 v36, vcc_lo, s2, v83
	v_ashrrev_i32_e32 v26, 31, v25
	s_wait_alu 0xfffc
	v_add_co_ci_u32_e64 v37, null, s21, v27, vcc_lo
	s_delay_alu instid0(VALU_DEP_3) | instskip(NEXT) | instid1(VALU_DEP_3)
	v_add_co_u32 v28, vcc_lo, v36, s17
	v_lshlrev_b64_e32 v[26:27], 3, v[25:26]
	s_wait_alu 0xfffd
	s_delay_alu instid0(VALU_DEP_3) | instskip(SKIP_3) | instid1(VALU_DEP_2)
	v_add_co_ci_u32_e64 v29, null, s25, v37, vcc_lo
	v_add_nc_u32_e32 v25, -6, v25
	s_add_co_i32 s20, s20, 1
	s_add_co_i32 s2, s2, s24
	v_lshlrev_b64_e32 v[28:29], 3, v[28:29]
	v_add_co_u32 v26, vcc_lo, s14, v26
	s_wait_alu 0xfffd
	v_add_co_ci_u32_e64 v27, null, s15, v27, vcc_lo
	s_wait_alu 0xfffe
	s_cmp_ge_i32 s20, s34
	v_add_co_u32 v32, vcc_lo, s4, v28
	s_wait_alu 0xfffd
	v_add_co_ci_u32_e64 v33, null, s5, v29, vcc_lo
	global_load_b64 v[30:31], v[26:27], off
	global_load_b128 v[26:29], v[32:33], off offset:-16
	s_wait_loadcnt 0x0
	v_fma_f64 v[140:141], -v[30:31], v[26:27], v[140:141]
	v_add_co_u32 v26, vcc_lo, v36, s26
	s_wait_alu 0xfffd
	v_add_co_ci_u32_e64 v27, null, s27, v37, vcc_lo
	v_fma_f64 v[86:87], -v[30:31], v[28:29], v[86:87]
	s_delay_alu instid0(VALU_DEP_2) | instskip(NEXT) | instid1(VALU_DEP_1)
	v_lshlrev_b64_e32 v[26:27], 3, v[26:27]
	v_add_co_u32 v34, vcc_lo, s4, v26
	s_wait_alu 0xfffd
	s_delay_alu instid0(VALU_DEP_2)
	v_add_co_ci_u32_e64 v35, null, s5, v27, vcc_lo
	global_load_b128 v[26:29], v[34:35], off offset:-16
	s_wait_loadcnt 0x0
	v_fma_f64 v[76:77], -v[30:31], v[26:27], v[76:77]
	v_add_co_u32 v26, vcc_lo, v36, s29
	s_wait_alu 0xfffd
	v_add_co_ci_u32_e64 v27, null, s36, v37, vcc_lo
	v_fma_f64 v[134:135], -v[30:31], v[28:29], v[134:135]
	s_delay_alu instid0(VALU_DEP_2) | instskip(NEXT) | instid1(VALU_DEP_1)
	v_lshlrev_b64_e32 v[26:27], 3, v[26:27]
	v_add_co_u32 v36, vcc_lo, s4, v26
	s_wait_alu 0xfffd
	s_delay_alu instid0(VALU_DEP_2)
	v_add_co_ci_u32_e64 v37, null, s5, v27, vcc_lo
	global_load_b128 v[26:29], v[36:37], off offset:-16
	s_wait_loadcnt 0x0
	v_fma_f64 v[148:149], -v[30:31], v[26:27], v[148:149]
	v_fma_f64 v[132:133], -v[30:31], v[28:29], v[132:133]
	global_load_b128 v[26:29], v[32:33], off offset:8
	s_wait_loadcnt 0x0
	v_fma_f64 v[66:67], -v[30:31], v[28:29], v[66:67]
	v_fma_f64 v[187:188], -v[30:31], v[26:27], v[187:188]
	global_load_b128 v[26:29], v[34:35], off offset:8
	;; [unrolled: 4-line block ×3, first 2 shown]
	s_wait_loadcnt 0x0
	v_fma_f64 v[108:109], -v[30:31], v[28:29], v[108:109]
	v_fma_f64 v[183:184], -v[30:31], v[26:27], v[183:184]
	s_cbranch_scc0 .LBB4_7
; %bb.8:
	v_add_nc_u32_e32 v30, -2, v42
	s_lshl_b32 s2, s17, 2
	s_clause 0x1
	scratch_store_b64 off, v[110:111], off offset:116
	scratch_store_b64 off, v[97:98], off offset:140
	s_wait_alu 0xfffe
	s_ashr_i32 s17, s2, 31
	v_mul_lo_u32 v37, v30, s16
	v_add_co_u32 v25, vcc_lo, v82, s2
	s_wait_alu 0xfffc
	v_add_co_ci_u32_e64 v26, null, s17, v84, vcc_lo
	v_add_co_u32 v28, vcc_lo, s10, v110
	s_wait_alu 0xfffd
	v_add_co_ci_u32_e64 v29, null, s11, v111, vcc_lo
	v_add_nc_u32_e32 v42, v24, v37
	v_add_co_u32 v32, vcc_lo, s10, v97
	s_wait_alu 0xfffd
	v_add_co_ci_u32_e64 v33, null, s11, v98, vcc_lo
	s_delay_alu instid0(VALU_DEP_3)
	v_subrev_nc_u32_e32 v88, s18, v42
	v_add_nc_u32_e32 v27, -2, v43
	s_lshl_b32 s17, s18, 2
	s_add_co_i32 s13, s13, s12
	s_lshl_b32 s12, s18, 1
	v_mov_b32_e32 v84, v88
	v_mul_lo_u32 v34, v27, s16
	s_lshl_b32 s20, s19, 2
	v_lshlrev_b64_e32 v[25:26], 3, v[25:26]
	v_mov_b32_e32 v100, 0
	v_mov_b32_e32 v116, 0
	v_mov_b32_e32 v106, 0
	v_dual_mov_b32 v107, 0 :: v_dual_mov_b32 v102, 0
	v_add_nc_u32_e32 v36, v24, v34
	v_add_co_u32 v40, vcc_lo, s10, v25
	v_mov_b32_e32 v92, 0
	v_dual_mov_b32 v93, 0 :: v_dual_mov_b32 v168, 0
	s_delay_alu instid0(VALU_DEP_4)
	v_subrev_nc_u32_e32 v96, s18, v36
	v_add_nc_u32_e32 v27, -2, v41
	s_wait_alu 0xfffd
	v_add_co_ci_u32_e64 v41, null, s11, v26, vcc_lo
	v_dual_mov_b32 v103, 0 :: v_dual_mov_b32 v156, 0
	v_mov_b32_e32 v98, v96
	v_mul_lo_u32 v35, v27, s16
	s_mul_i32 s16, s19, 3
	v_dual_mov_b32 v169, 0 :: v_dual_mov_b32 v118, 0
	s_wait_alu 0xfffe
	v_add_nc_u32_e32 v38, s16, v36
	v_dual_mov_b32 v157, 0 :: v_dual_add_nc_u32 v44, s16, v42
	s_delay_alu instid0(VALU_DEP_4) | instskip(NEXT) | instid1(VALU_DEP_3)
	v_dual_mov_b32 v152, 0 :: v_dual_add_nc_u32 v39, v24, v35
	v_subrev_nc_u32_e32 v38, s17, v38
	s_clause 0x1
	global_load_b128 v[24:27], v[28:29], off offset:8
	global_load_b128 v[28:31], v[28:29], off offset:-16
	v_dual_mov_b32 v119, 0 :: v_dual_mov_b32 v60, 0
	v_add_nc_u32_e32 v43, s16, v39
	v_add_nc_u32_e32 v191, 3, v38
	s_mul_i32 s16, s18, 5
	v_dual_mov_b32 v153, 0 :: v_dual_mov_b32 v48, v176
	s_delay_alu instid0(VALU_DEP_3) | instskip(SKIP_2) | instid1(VALU_DEP_3)
	v_subrev_nc_u32_e32 v38, s17, v43
	v_subrev_nc_u32_e32 v43, s17, v44
	v_dual_mov_b32 v61, 0 :: v_dual_mov_b32 v110, 0
	v_dual_mov_b32 v111, 0 :: v_dual_add_nc_u32 v124, 3, v38
	v_add3_u32 v38, s13, s19, v49
	s_delay_alu instid0(VALU_DEP_4) | instskip(NEXT) | instid1(VALU_DEP_3)
	v_dual_mov_b32 v154, 0 :: v_dual_add_nc_u32 v125, 3, v43
	v_dual_mov_b32 v155, 0 :: v_dual_mov_b32 v120, v124
	s_delay_alu instid0(VALU_DEP_3) | instskip(SKIP_1) | instid1(VALU_DEP_4)
	v_add_nc_u32_e32 v37, v38, v37
	v_add_nc_u32_e32 v35, v38, v35
	v_dual_mov_b32 v115, v125 :: v_dual_add_nc_u32 v34, v38, v34
	v_mov_b32_e32 v121, v191
	s_delay_alu instid0(VALU_DEP_4) | instskip(NEXT) | instid1(VALU_DEP_4)
	v_subrev_nc_u32_e32 v37, s12, v37
	v_subrev_nc_u32_e32 v35, s12, v35
	s_delay_alu instid0(VALU_DEP_4)
	v_subrev_nc_u32_e32 v34, s12, v34
	s_mov_b32 s12, s3
	v_mov_b32_e32 v101, 0
	v_add_nc_u32_e32 v97, 1, v37
	v_add_nc_u32_e32 v150, 1, v35
	;; [unrolled: 1-line block ×3, first 2 shown]
	v_mov_b32_e32 v117, 0
	s_delay_alu instid0(VALU_DEP_4) | instskip(NEXT) | instid1(VALU_DEP_4)
	v_mov_b32_e32 v99, v97
	v_dual_mov_b32 v104, v150 :: v_dual_add_nc_u32 v45, s20, v36
	v_subrev_nc_u32_e32 v89, s18, v39
	v_mov_b32_e32 v105, v147
	s_wait_alu 0xfffe
	s_delay_alu instid0(VALU_DEP_3) | instskip(SKIP_1) | instid1(VALU_DEP_2)
	v_subrev_nc_u32_e32 v44, s16, v45
	v_add_nc_u32_e32 v45, s20, v39
	v_dual_mov_b32 v85, v89 :: v_dual_add_nc_u32 v164, 4, v44
	s_delay_alu instid0(VALU_DEP_2) | instskip(NEXT) | instid1(VALU_DEP_1)
	v_subrev_nc_u32_e32 v43, s16, v45
	v_dual_mov_b32 v114, v164 :: v_dual_add_nc_u32 v165, 4, v43
	s_delay_alu instid0(VALU_DEP_1) | instskip(NEXT) | instid1(VALU_DEP_1)
	v_dual_mov_b32 v113, v165 :: v_dual_add_nc_u32 v44, s20, v42
	v_subrev_nc_u32_e32 v38, s16, v44
	s_delay_alu instid0(VALU_DEP_1)
	v_add_nc_u32_e32 v146, 4, v38
	s_clause 0x3
	global_load_b128 v[36:39], v[32:33], off offset:8
	global_load_b128 v[44:47], v[32:33], off offset:-16
	global_load_b128 v[32:35], v[40:41], off offset:8
	global_load_b128 v[40:43], v[40:41], off offset:-16
	v_mov_b32_e32 v112, v146
.LBB4_9:                                ; =>This Inner Loop Header: Depth=1
	v_ashrrev_i32_e32 v49, 31, v48
	s_add_co_i32 s12, s12, 1
	s_wait_alu 0xfffe
	s_cmp_ge_i32 s12, s34
	s_delay_alu instid0(VALU_DEP_1) | instskip(SKIP_1) | instid1(VALU_DEP_2)
	v_lshlrev_b64_e32 v[54:55], 3, v[48:49]
	v_add_nc_u32_e32 v48, -6, v48
	v_add_co_u32 v54, vcc_lo, s14, v54
	s_wait_alu 0xfffd
	s_delay_alu instid0(VALU_DEP_3) | instskip(SKIP_3) | instid1(VALU_DEP_2)
	v_add_co_ci_u32_e64 v55, null, s15, v55, vcc_lo
	global_load_b64 v[82:83], v[54:55], off
	v_add_nc_u32_e32 v54, s33, v98
	v_add_nc_u32_e32 v98, s24, v98
	v_ashrrev_i32_e32 v55, 31, v54
	s_delay_alu instid0(VALU_DEP_1) | instskip(NEXT) | instid1(VALU_DEP_1)
	v_lshlrev_b64_e32 v[54:55], 3, v[54:55]
	v_add_co_u32 v54, vcc_lo, s4, v54
	s_wait_alu 0xfffd
	s_delay_alu instid0(VALU_DEP_2)
	v_add_co_ci_u32_e64 v55, null, s5, v55, vcc_lo
	global_load_b64 v[54:55], v[54:55], off
	s_wait_loadcnt 0x0
	v_fma_f64 v[60:61], -v[82:83], v[54:55], v[60:61]
	v_add_nc_u32_e32 v54, s33, v85
	v_add_nc_u32_e32 v85, s24, v85
	s_delay_alu instid0(VALU_DEP_2) | instskip(NEXT) | instid1(VALU_DEP_1)
	v_ashrrev_i32_e32 v55, 31, v54
	v_lshlrev_b64_e32 v[54:55], 3, v[54:55]
	s_delay_alu instid0(VALU_DEP_1) | instskip(SKIP_1) | instid1(VALU_DEP_2)
	v_add_co_u32 v54, vcc_lo, s4, v54
	s_wait_alu 0xfffd
	v_add_co_ci_u32_e64 v55, null, s5, v55, vcc_lo
	global_load_b64 v[54:55], v[54:55], off
	s_wait_loadcnt 0x0
	v_fma_f64 v[168:169], -v[82:83], v[54:55], v[168:169]
	v_add_nc_u32_e32 v54, s33, v84
	v_add_nc_u32_e32 v84, s24, v84
	s_delay_alu instid0(VALU_DEP_2) | instskip(NEXT) | instid1(VALU_DEP_1)
	v_ashrrev_i32_e32 v55, 31, v54
	v_lshlrev_b64_e32 v[54:55], 3, v[54:55]
	s_delay_alu instid0(VALU_DEP_1) | instskip(SKIP_1) | instid1(VALU_DEP_2)
	v_add_co_u32 v54, vcc_lo, s4, v54
	s_wait_alu 0xfffd
	v_add_co_ci_u32_e64 v55, null, s5, v55, vcc_lo
	global_load_b64 v[54:55], v[54:55], off
	s_wait_loadcnt 0x0
	v_fma_f64 v[116:117], -v[82:83], v[54:55], v[116:117]
	v_add_nc_u32_e32 v54, s33, v105
	v_add_nc_u32_e32 v105, s24, v105
	s_delay_alu instid0(VALU_DEP_2) | instskip(NEXT) | instid1(VALU_DEP_1)
	v_ashrrev_i32_e32 v55, 31, v54
	v_lshlrev_b64_e32 v[54:55], 3, v[54:55]
	s_delay_alu instid0(VALU_DEP_1) | instskip(SKIP_1) | instid1(VALU_DEP_2)
	v_add_co_u32 v54, vcc_lo, s4, v54
	s_wait_alu 0xfffd
	v_add_co_ci_u32_e64 v55, null, s5, v55, vcc_lo
	global_load_b64 v[54:55], v[54:55], off
	s_wait_loadcnt 0x0
	v_fma_f64 v[152:153], -v[82:83], v[54:55], v[152:153]
	v_add_nc_u32_e32 v54, s33, v104
	v_add_nc_u32_e32 v104, s24, v104
	s_delay_alu instid0(VALU_DEP_2) | instskip(NEXT) | instid1(VALU_DEP_1)
	v_ashrrev_i32_e32 v55, 31, v54
	v_lshlrev_b64_e32 v[54:55], 3, v[54:55]
	s_delay_alu instid0(VALU_DEP_1) | instskip(SKIP_1) | instid1(VALU_DEP_2)
	v_add_co_u32 v54, vcc_lo, s4, v54
	s_wait_alu 0xfffd
	v_add_co_ci_u32_e64 v55, null, s5, v55, vcc_lo
	global_load_b64 v[54:55], v[54:55], off
	s_wait_loadcnt 0x0
	v_fma_f64 v[102:103], -v[82:83], v[54:55], v[102:103]
	v_add_nc_u32_e32 v54, s33, v99
	v_add_nc_u32_e32 v99, s24, v99
	s_delay_alu instid0(VALU_DEP_2) | instskip(NEXT) | instid1(VALU_DEP_1)
	v_ashrrev_i32_e32 v55, 31, v54
	v_lshlrev_b64_e32 v[54:55], 3, v[54:55]
	s_delay_alu instid0(VALU_DEP_1) | instskip(SKIP_1) | instid1(VALU_DEP_2)
	v_add_co_u32 v54, vcc_lo, s4, v54
	s_wait_alu 0xfffd
	v_add_co_ci_u32_e64 v55, null, s5, v55, vcc_lo
	global_load_b64 v[54:55], v[54:55], off
	s_wait_loadcnt 0x0
	v_fma_f64 v[106:107], -v[82:83], v[54:55], v[106:107]
	v_add_nc_u32_e32 v54, s33, v114
	v_add_nc_u32_e32 v114, s24, v114
	s_delay_alu instid0(VALU_DEP_2) | instskip(NEXT) | instid1(VALU_DEP_1)
	v_ashrrev_i32_e32 v55, 31, v54
	v_lshlrev_b64_e32 v[54:55], 3, v[54:55]
	s_delay_alu instid0(VALU_DEP_1) | instskip(SKIP_1) | instid1(VALU_DEP_2)
	v_add_co_u32 v54, vcc_lo, s4, v54
	s_wait_alu 0xfffd
	v_add_co_ci_u32_e64 v55, null, s5, v55, vcc_lo
	global_load_b64 v[54:55], v[54:55], off
	s_wait_loadcnt 0x0
	v_fma_f64 v[156:157], -v[82:83], v[54:55], v[156:157]
	v_add_nc_u32_e32 v54, s33, v113
	v_add_nc_u32_e32 v113, s24, v113
	s_delay_alu instid0(VALU_DEP_2) | instskip(NEXT) | instid1(VALU_DEP_1)
	v_ashrrev_i32_e32 v55, 31, v54
	v_lshlrev_b64_e32 v[54:55], 3, v[54:55]
	s_delay_alu instid0(VALU_DEP_1) | instskip(SKIP_1) | instid1(VALU_DEP_2)
	v_add_co_u32 v54, vcc_lo, s4, v54
	s_wait_alu 0xfffd
	v_add_co_ci_u32_e64 v55, null, s5, v55, vcc_lo
	global_load_b64 v[54:55], v[54:55], off
	s_wait_loadcnt 0x0
	v_fma_f64 v[154:155], -v[82:83], v[54:55], v[154:155]
	v_add_nc_u32_e32 v54, s33, v112
	v_add_nc_u32_e32 v112, s24, v112
	s_delay_alu instid0(VALU_DEP_2) | instskip(NEXT) | instid1(VALU_DEP_1)
	v_ashrrev_i32_e32 v55, 31, v54
	v_lshlrev_b64_e32 v[54:55], 3, v[54:55]
	s_delay_alu instid0(VALU_DEP_1) | instskip(SKIP_1) | instid1(VALU_DEP_2)
	v_add_co_u32 v54, vcc_lo, s4, v54
	s_wait_alu 0xfffd
	v_add_co_ci_u32_e64 v55, null, s5, v55, vcc_lo
	global_load_b64 v[54:55], v[54:55], off
	s_wait_loadcnt 0x0
	v_fma_f64 v[110:111], -v[82:83], v[54:55], v[110:111]
	v_add_nc_u32_e32 v54, s33, v121
	v_add_nc_u32_e32 v121, s24, v121
	s_delay_alu instid0(VALU_DEP_2) | instskip(NEXT) | instid1(VALU_DEP_1)
	v_ashrrev_i32_e32 v55, 31, v54
	v_lshlrev_b64_e32 v[54:55], 3, v[54:55]
	s_delay_alu instid0(VALU_DEP_1) | instskip(SKIP_1) | instid1(VALU_DEP_2)
	v_add_co_u32 v54, vcc_lo, s4, v54
	s_wait_alu 0xfffd
	v_add_co_ci_u32_e64 v55, null, s5, v55, vcc_lo
	global_load_b64 v[54:55], v[54:55], off
	s_wait_loadcnt 0x0
	v_fma_f64 v[118:119], -v[82:83], v[54:55], v[118:119]
	v_add_nc_u32_e32 v54, s33, v120
	v_add_nc_u32_e32 v120, s24, v120
	s_delay_alu instid0(VALU_DEP_2) | instskip(NEXT) | instid1(VALU_DEP_1)
	v_ashrrev_i32_e32 v55, 31, v54
	v_lshlrev_b64_e32 v[54:55], 3, v[54:55]
	s_delay_alu instid0(VALU_DEP_1) | instskip(SKIP_1) | instid1(VALU_DEP_2)
	v_add_co_u32 v54, vcc_lo, s4, v54
	s_wait_alu 0xfffd
	v_add_co_ci_u32_e64 v55, null, s5, v55, vcc_lo
	global_load_b64 v[54:55], v[54:55], off
	s_wait_loadcnt 0x0
	v_fma_f64 v[92:93], -v[82:83], v[54:55], v[92:93]
	v_add_nc_u32_e32 v54, s33, v115
	v_add_nc_u32_e32 v115, s24, v115
	s_delay_alu instid0(VALU_DEP_2) | instskip(NEXT) | instid1(VALU_DEP_1)
	v_ashrrev_i32_e32 v55, 31, v54
	v_lshlrev_b64_e32 v[54:55], 3, v[54:55]
	s_delay_alu instid0(VALU_DEP_1) | instskip(SKIP_1) | instid1(VALU_DEP_2)
	v_add_co_u32 v54, vcc_lo, s4, v54
	s_wait_alu 0xfffd
	v_add_co_ci_u32_e64 v55, null, s5, v55, vcc_lo
	global_load_b64 v[54:55], v[54:55], off
	s_wait_loadcnt 0x0
	v_fma_f64 v[100:101], -v[82:83], v[54:55], v[100:101]
	s_cbranch_scc0 .LBB4_9
; %bb.10:
	scratch_load_b64 v[10:11], off, off offset:452 th:TH_LOAD_LU ; 8-byte Folded Reload
	v_mul_f64_e32 v[84:85], v[130:131], v[24:25]
	v_mul_f64_e32 v[98:99], v[130:131], v[32:33]
	;; [unrolled: 1-line block ×4, first 2 shown]
	v_dual_mov_b32 v81, v27 :: v_dual_mov_b32 v80, v26
	v_dual_mov_b32 v26, v64 :: v_dual_mov_b32 v27, v65
	s_mov_b32 s12, 0x55555555
	s_mov_b32 s13, 0x3fb55555
	;; [unrolled: 1-line block ×3, first 2 shown]
	s_wait_alu 0xfffe
	s_mov_b32 s16, s12
	s_wait_loadcnt 0x0
	v_mul_f64_e32 v[48:49], v[10:11], v[24:25]
	scratch_load_b64 v[10:11], off, off offset:484 th:TH_LOAD_LU ; 8-byte Folded Reload
	v_mul_f64_e32 v[8:9], v[22:23], v[48:49]
	scratch_store_b64 off, v[8:9], off offset:596 ; 8-byte Folded Spill
	s_wait_loadcnt 0x0
	v_mul_f64_e32 v[24:25], v[10:11], v[36:37]
	v_mul_f64_e32 v[32:33], v[10:11], v[32:33]
	;; [unrolled: 1-line block ×3, first 2 shown]
	v_fma_f64 v[10:11], v[126:127], 2.0, v[122:123]
	v_dual_mov_b32 v36, v94 :: v_dual_mov_b32 v37, v95
	v_mul_f64_e32 v[8:9], v[22:23], v[24:25]
	scratch_load_b64 v[24:25], off, off offset:436 th:TH_LOAD_LU ; 8-byte Folded Reload
	scratch_store_b64 off, v[8:9], off offset:612 ; 8-byte Folded Spill
	v_mul_f64_e32 v[8:9], v[22:23], v[32:33]
	scratch_store_b64 off, v[8:9], off offset:452 ; 8-byte Folded Spill
	v_mul_f64_e32 v[8:9], v[22:23], v[82:83]
	v_mul_f64_e32 v[82:83], v[126:127], v[40:41]
	;; [unrolled: 1-line block ×3, first 2 shown]
	scratch_store_b64 off, v[8:9], off offset:484 ; 8-byte Folded Spill
	v_mul_f64_e32 v[8:9], v[22:23], v[84:85]
	v_mul_f64_e32 v[84:85], v[138:139], v[46:47]
	;; [unrolled: 1-line block ×3, first 2 shown]
	scratch_store_b64 off, v[8:9], off offset:604 ; 8-byte Folded Spill
	v_mul_f64_e32 v[8:9], v[22:23], v[98:99]
	scratch_store_b64 off, v[8:9], off offset:588 ; 8-byte Folded Spill
	v_mul_f64_e32 v[8:9], v[22:23], v[114:115]
	v_mul_f64_e32 v[22:23], v[122:123], v[44:45]
	;; [unrolled: 1-line block ×4, first 2 shown]
	scratch_store_b64 off, v[8:9], off offset:652 ; 8-byte Folded Spill
	v_mul_f64_e32 v[72:73], v[16:17], v[122:123]
	s_wait_loadcnt 0x0
	v_mul_f64_e32 v[48:49], v[24:25], v[46:47]
	v_mul_f64_e32 v[46:47], v[10:11], v[28:29]
	v_fma_f64 v[10:11], v[138:139], 2.0, v[24:25]
	v_mul_f64_e32 v[28:29], v[126:127], v[28:29]
	v_mul_f64_e32 v[42:43], v[24:25], v[42:43]
	;; [unrolled: 1-line block ×7, first 2 shown]
	scratch_load_b64 v[10:11], off, off offset:412 th:TH_LOAD_LU ; 8-byte Folded Reload
	v_mul_f64_e32 v[30:31], v[138:139], v[30:31]
	v_mul_f64_e32 v[138:139], v[24:25], v[18:19]
	;; [unrolled: 1-line block ×6, first 2 shown]
	v_dual_mov_b32 v127, v51 :: v_dual_mov_b32 v126, v50
	scratch_store_b64 off, v[8:9], off offset:644 ; 8-byte Folded Spill
	v_mul_f64_e32 v[8:9], v[18:19], v[42:43]
	v_mul_f64_e32 v[22:23], v[18:19], v[114:115]
	v_dual_mov_b32 v114, v170 :: v_dual_mov_b32 v115, v171
	v_mul_f64_e32 v[30:31], v[18:19], v[30:31]
	v_mul_f64_e32 v[130:131], v[18:19], v[138:139]
	scratch_load_b64 v[170:171], off, off offset:444 th:TH_LOAD_LU ; 8-byte Folded Reload
	scratch_store_b64 off, v[8:9], off offset:636 ; 8-byte Folded Spill
	v_mul_f64_e32 v[8:9], v[18:19], v[84:85]
	v_mul_f64_e32 v[18:19], v[148:149], v[28:29]
	;; [unrolled: 1-line block ×5, first 2 shown]
	v_add_f64_e64 v[22:23], v[126:127], -v[181:182]
	scratch_store_b64 off, v[8:9], off offset:628 ; 8-byte Folded Spill
	v_fma_f64 v[8:9], v[12:13], v[18:19], v[16:17]
	v_mul_f64_e32 v[18:19], v[86:87], v[44:45]
	v_mul_f64_e32 v[44:45], v[132:133], v[30:31]
	;; [unrolled: 1-line block ×4, first 2 shown]
	v_add_f64_e64 v[12:13], v[26:27], -v[114:115]
	v_add_f64_e64 v[28:29], v[179:180], -v[172:173]
	v_dual_mov_b32 v16, v62 :: v_dual_mov_b32 v17, v63
	scratch_store_b64 off, v[8:9], off offset:436 ; 8-byte Folded Spill
	v_fma_f64 v[8:9], v[14:15], v[44:45], v[18:19]
	v_mul_f64_e32 v[44:45], v[14:15], v[30:31]
	v_add_f64_e64 v[14:15], v[20:21], -v[166:167]
	v_mul_f64_e32 v[12:13], s[12:13], v[12:13]
	v_dual_mov_b32 v18, v68 :: v_dual_mov_b32 v19, v69
	v_add_f64_e64 v[30:31], v[62:63], -v[189:190]
	v_mul_f64_e32 v[48:49], v[142:143], v[48:49]
	scratch_store_b64 off, v[8:9], off offset:620 ; 8-byte Folded Spill
	v_mul_f64_e32 v[44:45], v[142:143], v[44:45]
	s_wait_alu 0xfffe
	v_fma_f64 v[12:13], v[14:15], s[16:17], -v[12:13]
	v_fma_f64 v[48:49], v[140:141], v[46:47], v[48:49]
	s_wait_loadcnt 0x1
	s_delay_alu instid0(VALU_DEP_2) | instskip(SKIP_4) | instid1(VALU_DEP_2)
	v_mul_f64_e32 v[12:13], v[10:11], v[12:13]
	scratch_load_b64 v[10:11], off, off offset:228 th:TH_LOAD_LU ; 8-byte Folded Reload
	s_wait_loadcnt 0x1
	v_add_f64_e64 v[14:15], v[170:171], -v[90:91]
	v_add_f64_e64 v[26:27], v[170:171], -v[26:27]
	v_mul_f64_e32 v[14:15], s[12:13], v[14:15]
	s_delay_alu instid0(VALU_DEP_2) | instskip(NEXT) | instid1(VALU_DEP_2)
	v_mul_f64_e32 v[26:27], s[12:13], v[26:27]
	v_fma_f64 v[14:15], v[22:23], s[16:17], -v[14:15]
	v_add_f64_e64 v[22:23], v[58:59], -v[18:19]
	s_wait_loadcnt 0x0
	s_delay_alu instid0(VALU_DEP_2) | instskip(SKIP_4) | instid1(VALU_DEP_1)
	v_fma_f64 v[8:9], v[10:11], v[14:15], -v[12:13]
	scratch_load_b64 v[10:11], off, off offset:420 th:TH_LOAD_LU ; 8-byte Folded Reload
	v_add_f64_e64 v[14:15], v[177:178], -v[160:161]
	scratch_store_b64 off, v[8:9], off offset:228 ; 8-byte Folded Spill
	v_mul_f64_e32 v[14:15], s[12:13], v[14:15]
	v_fma_f64 v[14:15], v[22:23], s[16:17], -v[14:15]
	v_add_f64_e64 v[22:23], v[136:137], -v[144:145]
	s_delay_alu instid0(VALU_DEP_1) | instskip(NEXT) | instid1(VALU_DEP_1)
	v_mul_f64_e32 v[22:23], s[12:13], v[22:23]
	v_fma_f64 v[22:23], v[28:29], s[16:17], -v[22:23]
	v_add_f64_e64 v[28:29], v[36:37], -v[56:57]
	s_wait_loadcnt 0x0
	v_mul_f64_e32 v[14:15], v[10:11], v[14:15]
	scratch_load_b64 v[10:11], off, off offset:428 th:TH_LOAD_LU ; 8-byte Folded Reload
	s_wait_loadcnt 0x0
	v_fma_f64 v[8:9], v[10:11], v[22:23], -v[14:15]
	v_dual_mov_b32 v10, v90 :: v_dual_mov_b32 v11, v91
	scratch_store_b64 off, v[8:9], off offset:412 ; 8-byte Folded Spill
	s_clause 0x5
	scratch_load_b64 v[162:163], off, off offset:492 th:TH_LOAD_LU
	scratch_load_b64 v[64:65], off, off offset:500 th:TH_LOAD_LU
	;; [unrolled: 1-line block ×5, first 2 shown]
	scratch_load_b64 v[8:9], off, off offset:8
	s_wait_loadcnt 0x4
	v_add_f64_e64 v[22:23], v[162:163], -v[64:65]
	s_delay_alu instid0(VALU_DEP_1) | instskip(NEXT) | instid1(VALU_DEP_1)
	v_mul_f64_e32 v[22:23], s[12:13], v[22:23]
	v_fma_f64 v[22:23], v[28:29], s[16:17], -v[22:23]
	s_wait_loadcnt 0x2
	v_add_f64_e64 v[28:29], v[68:69], -v[94:95]
	s_delay_alu instid0(VALU_DEP_1) | instskip(NEXT) | instid1(VALU_DEP_1)
	v_mul_f64_e32 v[28:29], s[12:13], v[28:29]
	v_fma_f64 v[28:29], v[30:31], s[16:17], -v[28:29]
	s_wait_loadcnt 0x0
	v_mul_f64_e32 v[30:31], v[32:33], v[8:9]
	s_clause 0x1
	scratch_load_b64 v[138:139], off, off offset:388 th:TH_LOAD_LU
	scratch_load_b64 v[8:9], off, off offset:16
	v_mul_f64_e32 v[30:31], v[32:33], v[30:31]
	s_delay_alu instid0(VALU_DEP_1) | instskip(SKIP_2) | instid1(VALU_DEP_1)
	v_mul_f64_e32 v[28:29], v[30:31], v[28:29]
	s_wait_loadcnt 0x0
	v_mul_f64_e32 v[30:31], v[138:139], v[8:9]
	v_mul_f64_e32 v[30:31], v[138:139], v[30:31]
	s_delay_alu instid0(VALU_DEP_1)
	v_fma_f64 v[8:9], v[30:31], v[22:23], -v[28:29]
	v_dual_mov_b32 v22, v78 :: v_dual_mov_b32 v23, v79
	v_dual_mov_b32 v79, v57 :: v_dual_mov_b32 v78, v56
	scratch_store_b64 off, v[8:9], off offset:420 ; 8-byte Folded Spill
	s_clause 0x6
	scratch_load_b64 v[50:51], off, off offset:548 th:TH_LOAD_LU
	scratch_load_b64 v[174:175], off, off offset:556 th:TH_LOAD_LU
	;; [unrolled: 1-line block ×7, first 2 shown]
	s_wait_loadcnt 0x5
	v_add_f64_e64 v[28:29], v[50:51], -v[174:175]
	s_wait_loadcnt 0x3
	v_add_f64_e64 v[30:31], v[90:91], -v[24:25]
	;; [unrolled: 2-line block ×3, first 2 shown]
	s_delay_alu instid0(VALU_DEP_3) | instskip(NEXT) | instid1(VALU_DEP_1)
	v_mul_f64_e32 v[28:29], s[12:13], v[28:29]
	v_fma_f64 v[28:29], v[30:31], s[16:17], -v[28:29]
	v_add_f64_e64 v[30:31], v[8:9], -v[12:13]
	s_delay_alu instid0(VALU_DEP_1) | instskip(NEXT) | instid1(VALU_DEP_1)
	v_mul_f64_e32 v[30:31], s[12:13], v[30:31]
	v_fma_f64 v[30:31], v[54:55], s[16:17], -v[30:31]
	s_clause 0x5
	scratch_load_b64 v[98:99], off, off offset:56 th:TH_LOAD_LU
	scratch_load_b64 v[54:55], off, off
	scratch_load_b64 v[104:105], off, off offset:64 th:TH_LOAD_LU
	scratch_load_b64 v[112:113], off, off offset:172 th:TH_LOAD_LU
	;; [unrolled: 1-line block ×4, first 2 shown]
	s_wait_loadcnt 0x4
	v_mul_f64_e32 v[54:55], v[98:99], v[54:55]
	s_delay_alu instid0(VALU_DEP_1) | instskip(NEXT) | instid1(VALU_DEP_1)
	v_mul_f64_e32 v[54:55], v[98:99], v[54:55]
	v_mul_f64_e32 v[30:31], v[54:55], v[30:31]
	s_wait_loadcnt 0x2
	v_mul_f64_e32 v[54:55], v[104:105], v[112:113]
	s_delay_alu instid0(VALU_DEP_1) | instskip(NEXT) | instid1(VALU_DEP_1)
	v_mul_f64_e32 v[54:55], v[104:105], v[54:55]
	v_fma_f64 v[28:29], v[54:55], v[28:29], -v[30:31]
	scratch_load_b64 v[54:55], off, off offset:156 th:TH_LOAD_LU ; 8-byte Folded Reload
	v_add_f64_e64 v[30:31], v[10:11], -v[114:115]
	scratch_load_b64 v[10:11], off, off offset:212 th:TH_LOAD_LU ; 8-byte Folded Reload
	s_wait_loadcnt 0x3
	v_mul_f64_e32 v[120:121], v[56:57], v[38:39]
	s_wait_loadcnt 0x2
	v_mul_f64_e32 v[122:123], v[62:63], v[80:81]
	v_add_f64_e64 v[62:63], v[144:145], -v[160:161]
	scratch_store_b64 off, v[28:29], off offset:428 ; 8-byte Folded Spill
	v_dual_mov_b32 v28, v36 :: v_dual_mov_b32 v29, v37
	v_mul_f64_e32 v[30:31], s[12:13], v[30:31]
	s_delay_alu instid0(VALU_DEP_1)
	v_fma_f64 v[30:31], v[62:63], s[16:17], -v[30:31]
	v_add_f64_e64 v[62:63], v[174:175], -v[12:13]
	scratch_load_b64 v[12:13], off, off offset:372 th:TH_LOAD_LU ; 8-byte Folded Reload
	v_mul_f64_e32 v[30:31], v[72:73], v[30:31]
	v_add_f64_e64 v[72:73], v[172:173], -v[18:19]
	s_wait_loadcnt 0x2
	v_mul_f64_e32 v[38:39], v[54:55], v[38:39]
	v_mul_f64_e32 v[114:115], v[54:55], v[80:81]
	;; [unrolled: 1-line block ×3, first 2 shown]
	v_add_f64_e64 v[54:55], v[136:137], -v[177:178]
	scratch_load_b64 v[136:137], off, off offset:180 th:TH_LOAD_LU ; 8-byte Folded Reload
	v_mul_f64_e32 v[34:35], v[56:57], v[34:35]
	v_add_f64_e64 v[80:81], v[24:25], -v[22:23]
	v_fma_f64 v[26:27], v[54:55], s[16:17], -v[26:27]
	s_wait_loadcnt 0x0
	v_mul_f64_e32 v[54:55], v[56:57], v[136:137]
	v_add_f64_e64 v[56:57], v[50:51], -v[8:9]
	scratch_load_b64 v[8:9], off, off offset:652 th:TH_LOAD_LU ; 8-byte Folded Reload
	v_mul_f64_e32 v[34:35], v[136:137], v[34:35]
	v_mul_f64_e32 v[38:39], v[136:137], v[38:39]
	;; [unrolled: 1-line block ×3, first 2 shown]
	s_delay_alu instid0(VALU_DEP_1) | instskip(SKIP_2) | instid1(VALU_DEP_3)
	v_fma_f64 v[26:27], v[54:55], v[26:27], -v[30:31]
	v_add_f64_e64 v[30:31], v[64:65], -v[94:95]
	v_add_f64_e64 v[54:55], v[162:163], -v[68:69]
	v_mul_f64_e32 v[26:27], s[12:13], v[26:27]
	s_delay_alu instid0(VALU_DEP_3) | instskip(NEXT) | instid1(VALU_DEP_3)
	v_mul_f64_e32 v[30:31], s[12:13], v[30:31]
	v_mul_f64_e32 v[54:55], s[12:13], v[54:55]
	s_delay_alu instid0(VALU_DEP_2) | instskip(NEXT) | instid1(VALU_DEP_2)
	v_fma_f64 v[30:31], v[62:63], s[16:17], -v[30:31]
	v_fma_f64 v[54:55], v[56:57], s[16:17], -v[54:55]
	v_add_f64_e64 v[56:57], v[126:127], -v[20:21]
	v_add_f64_e64 v[62:63], v[179:180], -v[58:59]
	v_dual_mov_b32 v20, v32 :: v_dual_mov_b32 v21, v33
	v_mul_f64_e32 v[30:31], v[10:11], v[30:31]
	scratch_load_b64 v[10:11], off, off offset:220 th:TH_LOAD_LU ; 8-byte Folded Reload
	s_wait_loadcnt 0x0
	v_fma_f64 v[30:31], v[10:11], v[54:55], -v[30:31]
	v_add_f64_e64 v[54:55], v[181:182], -v[166:167]
	s_delay_alu instid0(VALU_DEP_2) | instskip(NEXT) | instid1(VALU_DEP_2)
	v_mul_f64_e32 v[30:31], s[12:13], v[30:31]
	v_mul_f64_e32 v[54:55], s[12:13], v[54:55]
	s_delay_alu instid0(VALU_DEP_1) | instskip(SKIP_1) | instid1(VALU_DEP_2)
	v_fma_f64 v[72:73], v[72:73], s[16:17], -v[54:55]
	v_mul_f64_e32 v[54:55], s[12:13], v[56:57]
	v_mul_f64_e32 v[56:57], v[130:131], v[72:73]
	s_delay_alu instid0(VALU_DEP_2) | instskip(SKIP_2) | instid1(VALU_DEP_3)
	v_fma_f64 v[54:55], v[62:63], s[16:17], -v[54:55]
	v_add_f64_e64 v[62:63], v[28:29], -v[16:17]
	v_add_f64_e64 v[72:73], v[90:91], -v[14:15]
	v_fma_f64 v[54:55], v[8:9], v[54:55], -v[56:57]
	scratch_load_b64 v[8:9], off, off offset:644 th:TH_LOAD_LU ; 8-byte Folded Reload
	v_mul_f64_e32 v[62:63], s[12:13], v[62:63]
	v_add_f64_e64 v[56:57], v[78:79], -v[189:190]
	v_fma_f64 v[26:27], v[54:55], s[16:17], -v[26:27]
	s_delay_alu instid0(VALU_DEP_3) | instskip(SKIP_2) | instid1(VALU_DEP_1)
	v_fma_f64 v[62:63], v[72:73], s[16:17], -v[62:63]
	scratch_load_b64 v[72:73], off, off offset:132 th:TH_LOAD_LU ; 8-byte Folded Reload
	v_mul_f64_e32 v[56:57], s[12:13], v[56:57]
	v_fma_f64 v[56:57], v[80:81], s[16:17], -v[56:57]
	scratch_load_b64 v[80:81], off, off offset:48 th:TH_LOAD_LU ; 8-byte Folded Reload
	s_wait_loadcnt 0x2
	v_mul_f64_e32 v[46:47], v[134:135], v[8:9]
	scratch_load_b64 v[8:9], off, off offset:636 th:TH_LOAD_LU ; 8-byte Folded Reload
	v_mul_f64_e32 v[46:47], v[4:5], v[46:47]
	s_delay_alu instid0(VALU_DEP_1) | instskip(SKIP_1) | instid1(VALU_DEP_1)
	v_fma_f64 v[46:47], v[86:87], v[42:43], v[46:47]
	s_wait_loadcnt 0x0
	v_fma_f64 v[42:43], v[132:133], v[8:9], v[46:47]
	scratch_load_b64 v[8:9], off, off offset:628 th:TH_LOAD_LU ; 8-byte Folded Reload
	v_mul_f64_e32 v[56:57], v[72:73], v[56:57]
	scratch_load_b64 v[72:73], off, off offset:124 th:TH_LOAD_LU ; 8-byte Folded Reload
	v_mul_f64_e32 v[46:47], v[0:1], v[12:13]
	s_delay_alu instid0(VALU_DEP_1)
	v_mul_f64_e32 v[46:47], v[12:13], v[46:47]
	s_wait_loadcnt 0x0
	v_fma_f64 v[56:57], v[72:73], v[62:63], -v[56:57]
	v_mul_f64_e32 v[62:63], v[76:77], v[82:83]
	v_mul_f64_e32 v[76:77], v[136:137], v[122:123]
	scratch_load_b64 v[82:83], off, off offset:404 th:TH_LOAD_LU ; 8-byte Folded Reload
	v_fma_f64 v[30:31], v[56:57], s[16:17], -v[30:31]
	v_mul_f64_e32 v[62:63], v[4:5], v[62:63]
	v_mul_f64_e32 v[76:77], v[80:81], v[76:77]
	s_delay_alu instid0(VALU_DEP_2) | instskip(NEXT) | instid1(VALU_DEP_1)
	v_fma_f64 v[62:63], v[140:141], v[84:85], v[62:63]
	v_fma_f64 v[72:73], v[148:149], v[40:41], v[62:63]
	v_mul_f64_e32 v[62:63], v[136:137], v[120:121]
	v_fma_f64 v[40:41], v[86:87], v[8:9], v[44:45]
	s_delay_alu instid0(VALU_DEP_2) | instskip(NEXT) | instid1(VALU_DEP_1)
	v_mul_f64_e32 v[62:63], v[74:75], v[62:63]
	v_mul_f64_e32 v[62:63], v[4:5], v[62:63]
	s_delay_alu instid0(VALU_DEP_1) | instskip(NEXT) | instid1(VALU_DEP_1)
	v_fma_f64 v[62:63], v[66:67], v[76:77], v[62:63]
	v_fma_f64 v[34:35], v[108:109], v[34:35], v[62:63]
	v_mul_f64_e32 v[62:63], v[136:137], v[114:115]
	s_delay_alu instid0(VALU_DEP_1) | instskip(SKIP_2) | instid1(VALU_DEP_2)
	v_mul_f64_e32 v[76:77], v[74:75], v[62:63]
	v_mul_f64_e32 v[74:75], v[136:137], v[36:37]
	;; [unrolled: 1-line block ×4, first 2 shown]
	s_delay_alu instid0(VALU_DEP_1)
	v_fma_f64 v[74:75], v[80:81], v[62:63], v[74:75]
	v_mul_f64_e32 v[62:63], v[80:81], v[76:77]
	s_clause 0x3
	scratch_load_b64 v[80:81], off, off offset:396 th:TH_LOAD_LU
	scratch_load_b64 v[10:11], off, off offset:332 th:TH_LOAD_LU
	;; [unrolled: 1-line block ×3, first 2 shown]
	scratch_load_b32 v84, off, off offset:108 th:TH_LOAD_LU
	v_mul_f64_e32 v[62:63], v[142:143], v[62:63]
	s_delay_alu instid0(VALU_DEP_1) | instskip(SKIP_2) | instid1(VALU_DEP_2)
	v_fma_f64 v[38:39], v[66:67], v[38:39], v[62:63]
	s_wait_loadcnt 0x4
	v_mul_f64_e32 v[62:63], v[82:83], v[82:83]
	v_add_f64_e64 v[22:23], v[38:39], -v[48:49]
	s_delay_alu instid0(VALU_DEP_2) | instskip(NEXT) | instid1(VALU_DEP_2)
	v_fma_f64 v[62:63], v[0:1], v[46:47], v[62:63]
	v_mul_f64_e32 v[22:23], s[12:13], v[22:23]
	s_wait_loadcnt 0x3
	v_mul_f64_e32 v[44:45], v[4:5], v[80:81]
	s_wait_loadcnt 0x1
	v_fma_f64 v[66:67], v[8:9], 2.0, v[10:11]
	v_add_f64_e32 v[76:77], v[8:9], v[10:11]
	v_mul_f64_e32 v[62:63], v[8:9], v[62:63]
	scratch_load_b64 v[10:11], off, off offset:356 th:TH_LOAD_LU ; 8-byte Folded Reload
	s_wait_loadcnt 0x1
	v_add_nc_u32_e32 v84, s2, v84
	s_delay_alu instid0(VALU_DEP_1) | instskip(NEXT) | instid1(VALU_DEP_1)
	v_ashrrev_i32_e32 v85, 31, v84
	v_lshlrev_b64_e32 v[84:85], 3, v[84:85]
	v_mul_f64_e32 v[44:45], v[80:81], v[44:45]
	v_mul_f64_e32 v[78:79], v[66:67], v[82:83]
	s_delay_alu instid0(VALU_DEP_2) | instskip(NEXT) | instid1(VALU_DEP_1)
	v_mul_f64_e32 v[44:45], v[4:5], v[44:45]
	v_fma_f64 v[46:47], v[0:1], v[46:47], v[44:45]
	v_fma_f64 v[44:45], v[82:83], v[82:83], v[44:45]
	s_delay_alu instid0(VALU_DEP_2) | instskip(NEXT) | instid1(VALU_DEP_2)
	v_mul_f64_e32 v[46:47], v[8:9], v[46:47]
	v_mul_f64_e32 v[44:45], v[8:9], v[44:45]
	scratch_load_b64 v[8:9], off, off offset:324 th:TH_LOAD_LU ; 8-byte Folded Reload
	v_fma_f64 v[46:47], v[82:83], v[78:79], v[46:47]
	v_mul_f64_e32 v[78:79], v[66:67], v[80:81]
	v_mul_f64_e32 v[66:67], v[66:67], v[12:13]
	s_delay_alu instid0(VALU_DEP_2) | instskip(NEXT) | instid1(VALU_DEP_2)
	v_mul_f64_e32 v[78:79], v[4:5], v[78:79]
	v_mul_f64_e32 v[66:67], v[0:1], v[66:67]
	s_delay_alu instid0(VALU_DEP_2) | instskip(NEXT) | instid1(VALU_DEP_2)
	;; [unrolled: 3-line block ×3, first 2 shown]
	v_fma_f64 v[62:63], v[4:5], v[78:79], v[62:63]
	v_fma_f64 v[44:45], v[0:1], v[66:67], v[44:45]
	s_wait_loadcnt 0x0
	v_mul_f64_e32 v[66:67], v[8:9], v[76:77]
	s_delay_alu instid0(VALU_DEP_3) | instskip(NEXT) | instid1(VALU_DEP_3)
	v_mul_f64_e32 v[62:63], v[8:9], v[62:63]
	v_mul_f64_e32 v[44:45], v[8:9], v[44:45]
	;; [unrolled: 1-line block ×3, first 2 shown]
	scratch_load_b64 v[8:9], off, off offset:348 th:TH_LOAD_LU ; 8-byte Folded Reload
	v_mul_f64_e32 v[76:77], v[12:13], v[66:67]
	v_mul_f64_e32 v[66:67], v[66:67], v[80:81]
	v_mul_f64_e32 v[12:13], v[52:53], v[142:143]
	s_delay_alu instid0(VALU_DEP_3) | instskip(NEXT) | instid1(VALU_DEP_3)
	v_mul_f64_e32 v[78:79], v[80:81], v[76:77]
	v_mul_f64_e32 v[66:67], v[66:67], v[82:83]
	s_delay_alu instid0(VALU_DEP_3)
	v_mul_f64_e32 v[62:63], v[12:13], v[62:63]
	v_mul_f64_e32 v[44:45], v[12:13], v[44:45]
	;; [unrolled: 1-line block ×4, first 2 shown]
	s_clause 0x1
	scratch_load_b32 v82, off, off offset:112 th:TH_LOAD_LU
	scratch_load_b32 v80, off, off offset:104 th:TH_LOAD_LU
	v_mul_f64_e32 v[66:67], v[52:53], v[66:67]
	v_mul_f64_e32 v[62:63], v[10:11], v[62:63]
	;; [unrolled: 1-line block ×3, first 2 shown]
	s_wait_loadcnt 0x2
	v_mul_f64_e32 v[44:45], v[8:9], v[44:45]
	s_delay_alu instid0(VALU_DEP_3) | instskip(NEXT) | instid1(VALU_DEP_2)
	v_fma_f64 v[62:63], v[78:79], v[8:9], v[62:63]
	v_fma_f64 v[78:79], v[78:79], v[10:11], v[44:45]
	v_mul_f64_e32 v[44:45], v[66:67], v[10:11]
	s_delay_alu instid0(VALU_DEP_1) | instskip(SKIP_4) | instid1(VALU_DEP_2)
	v_fma_f64 v[44:45], v[8:9], v[76:77], v[44:45]
	scratch_load_b64 v[8:9], off, off offset:340 th:TH_LOAD_LU ; 8-byte Folded Reload
	s_wait_loadcnt 0x1
	v_add_nc_u32_e32 v80, s2, v80
	v_add_nc_u32_e32 v82, s2, v82
	v_ashrrev_i32_e32 v81, 31, v80
	s_delay_alu instid0(VALU_DEP_2) | instskip(NEXT) | instid1(VALU_DEP_2)
	v_ashrrev_i32_e32 v83, 31, v82
	v_lshlrev_b64_e32 v[80:81], 3, v[80:81]
	s_delay_alu instid0(VALU_DEP_2)
	v_lshlrev_b64_e32 v[82:83], 3, v[82:83]
	s_wait_loadcnt 0x0
	v_fma_f64 v[44:45], v[8:9], v[46:47], v[44:45]
	v_fma_f64 v[46:47], v[66:67], v[8:9], v[62:63]
	;; [unrolled: 1-line block ×3, first 2 shown]
	scratch_load_b64 v[8:9], off, off offset:292 th:TH_LOAD_LU ; 8-byte Folded Reload
	v_add_f64_e32 v[46:47], v[128:129], v[46:47]
	s_wait_loadcnt 0x0
	v_add_co_u32 v62, vcc_lo, s10, v8
	s_wait_alu 0xfffd
	v_add_co_ci_u32_e64 v63, null, s11, v9, vcc_lo
	scratch_load_b64 v[8:9], off, off offset:276 th:TH_LOAD_LU ; 8-byte Folded Reload
	s_wait_loadcnt 0x0
	v_add_co_u32 v66, vcc_lo, s10, v8
	s_wait_alu 0xfffd
	v_add_co_ci_u32_e64 v67, null, s11, v9, vcc_lo
	scratch_load_b64 v[8:9], off, off offset:308 th:TH_LOAD_LU ; 8-byte Folded Reload
	;; [unrolled: 5-line block ×3, first 2 shown]
	s_wait_loadcnt 0x0
	v_add_co_u32 v78, vcc_lo, s10, v8
	s_wait_alu 0xfffd
	v_add_co_ci_u32_e64 v79, null, s11, v9, vcc_lo
	v_add_co_u32 v80, vcc_lo, s10, v80
	s_wait_alu 0xfffd
	v_add_co_ci_u32_e64 v81, null, s11, v81, vcc_lo
	;; [unrolled: 3-line block ×4, first 2 shown]
	s_clause 0x4
	global_load_b64 v[62:63], v[62:63], off
	global_load_b64 v[80:81], v[80:81], off
	;; [unrolled: 1-line block ×5, first 2 shown]
	s_clause 0x1
	scratch_load_b64 v[8:9], off, off offset:268 th:TH_LOAD_LU
	scratch_load_b64 v[130:131], off, off offset:80 th:TH_LOAD_LU
	s_wait_loadcnt 0x3
	v_mul_f64_e32 v[48:49], v[112:113], v[82:83]
	s_wait_loadcnt 0x1
	v_mul_f64_e32 v[86:87], v[8:9], v[62:63]
	scratch_load_b128 v[8:11], off, off offset:196 th:TH_LOAD_LU ; 16-byte Folded Reload
	s_wait_loadcnt 0x1
	v_mul_f64_e32 v[62:63], v[130:131], v[62:63]
	v_mul_f64_e32 v[90:91], v[130:131], v[80:81]
	;; [unrolled: 1-line block ×4, first 2 shown]
	s_delay_alu instid0(VALU_DEP_4) | instskip(NEXT) | instid1(VALU_DEP_4)
	v_mul_f64_e32 v[62:63], v[32:33], v[62:63]
	v_mul_f64_e32 v[90:91], v[32:33], v[90:91]
	s_delay_alu instid0(VALU_DEP_4) | instskip(NEXT) | instid1(VALU_DEP_4)
	v_mul_f64_e32 v[48:49], v[100:101], v[48:49]
	v_mul_f64_e32 v[86:87], v[168:169], v[86:87]
	;; [unrolled: 3-line block ×3, first 2 shown]
	v_mul_f64_e32 v[62:63], v[60:61], v[62:63]
	s_wait_loadcnt 0x0
	s_delay_alu instid0(VALU_DEP_2)
	v_fma_f64 v[90:91], v[8:9], v[94:95], v[90:91]
	s_clause 0x1
	global_load_b64 v[76:77], v[76:77], off
	global_load_b64 v[78:79], v[78:79], off
	s_clause 0x2
	scratch_load_b64 v[94:95], off, off offset:260 th:TH_LOAD_LU
	scratch_load_b64 v[132:133], off, off offset:88 th:TH_LOAD_LU
	scratch_load_b64 v[50:51], off, off offset:8 th:TH_LOAD_LU
	v_mul_f64_e32 v[86:87], v[8:9], v[86:87]
	v_mul_f64_e32 v[8:9], v[8:9], v[62:63]
	s_delay_alu instid0(VALU_DEP_2) | instskip(NEXT) | instid1(VALU_DEP_2)
	v_mul_f64_e32 v[86:87], v[52:53], v[86:87]
	v_mul_f64_e32 v[8:9], v[52:53], v[8:9]
	s_wait_loadcnt 0x2
	v_mul_f64_e32 v[94:95], v[94:95], v[76:77]
	s_wait_loadcnt 0x1
	v_mul_f64_e32 v[76:77], v[132:133], v[76:77]
	v_mul_f64_e32 v[108:109], v[132:133], v[84:85]
	s_delay_alu instid0(VALU_DEP_3) | instskip(NEXT) | instid1(VALU_DEP_3)
	v_mul_f64_e32 v[94:95], v[98:99], v[94:95]
	v_mul_f64_e32 v[76:77], v[98:99], v[76:77]
	s_delay_alu instid0(VALU_DEP_3) | instskip(NEXT) | instid1(VALU_DEP_3)
	;; [unrolled: 3-line block ×3, first 2 shown]
	v_mul_f64_e32 v[114:115], v[106:107], v[76:77]
	v_mul_f64_e32 v[108:109], v[102:103], v[108:109]
	;; [unrolled: 1-line block ×3, first 2 shown]
	s_delay_alu instid0(VALU_DEP_4) | instskip(SKIP_1) | instid1(VALU_DEP_4)
	v_mul_f64_e32 v[62:63], v[10:11], v[94:95]
	v_add_nc_u32_e32 v94, s2, v151
	v_fma_f64 v[108:109], v[10:11], v[114:115], v[108:109]
	s_delay_alu instid0(VALU_DEP_4) | instskip(SKIP_4) | instid1(VALU_DEP_1)
	v_mul_f64_e32 v[10:11], v[10:11], v[76:77]
	s_wait_loadcnt 0x0
	v_mul_f64_e32 v[76:77], v[50:51], v[66:67]
	v_mul_f64_e32 v[66:67], v[130:131], v[66:67]
	v_ashrrev_i32_e32 v95, 31, v94
	v_lshlrev_b64_e32 v[94:95], 3, v[94:95]
	v_mul_f64_e32 v[62:63], v[52:53], v[62:63]
	v_mul_f64_e32 v[10:11], v[52:53], v[10:11]
	;; [unrolled: 1-line block ×4, first 2 shown]
	s_delay_alu instid0(VALU_DEP_2)
	v_fma_f64 v[60:61], v[60:61], v[76:77], v[86:87]
	s_clause 0x1
	scratch_load_b64 v[76:77], off, off offset:316 th:TH_LOAD_LU
	scratch_load_b64 v[86:87], off, off offset:252 th:TH_LOAD_LU
	v_fma_f64 v[8:9], v[168:169], v[66:67], v[8:9]
	s_wait_loadcnt 0x1
	v_add_co_u32 v76, vcc_lo, s10, v76
	s_wait_alu 0xfffd
	v_add_co_ci_u32_e64 v77, null, s11, v77, vcc_lo
	s_wait_loadcnt 0x0
	v_add_co_u32 v86, vcc_lo, s10, v86
	s_wait_alu 0xfffd
	v_add_co_ci_u32_e64 v87, null, s11, v87, vcc_lo
	s_clause 0x1
	global_load_b64 v[76:77], v[76:77], off
	global_load_b64 v[86:87], v[86:87], off
	s_clause 0x2
	scratch_load_b64 v[114:115], off, off offset:244 th:TH_LOAD_LU
	scratch_load_b64 v[126:127], off, off offset:40 th:TH_LOAD_LU
	scratch_load_b64 v[64:65], off, off offset:16 th:TH_LOAD_LU
	v_add_co_u32 v94, vcc_lo, s10, v94
	s_wait_alu 0xfffd
	v_add_co_ci_u32_e64 v95, null, s11, v95, vcc_lo
	s_wait_loadcnt 0x2
	v_mul_f64_e32 v[114:115], v[114:115], v[76:77]
	s_wait_loadcnt 0x0
	v_mul_f64_e32 v[120:121], v[64:65], v[86:87]
	s_delay_alu instid0(VALU_DEP_2) | instskip(NEXT) | instid1(VALU_DEP_2)
	v_mul_f64_e32 v[114:115], v[138:139], v[114:115]
	v_mul_f64_e32 v[120:121], v[138:139], v[120:121]
	s_delay_alu instid0(VALU_DEP_2) | instskip(NEXT) | instid1(VALU_DEP_1)
	v_mul_f64_e32 v[114:115], v[154:155], v[114:115]
	v_mul_f64_e32 v[114:115], v[126:127], v[114:115]
	s_delay_alu instid0(VALU_DEP_1) | instskip(NEXT) | instid1(VALU_DEP_1)
	v_mul_f64_e32 v[114:115], v[52:53], v[114:115]
	v_fma_f64 v[114:115], v[156:157], v[120:121], v[114:115]
	global_load_b64 v[94:95], v[94:95], off
	s_clause 0x4
	scratch_load_b64 v[120:121], off, off offset:96 th:TH_LOAD_LU
	scratch_load_b64 v[58:59], off, off th:TH_LOAD_LU
	scratch_load_b64 v[12:13], off, off offset:612 th:TH_LOAD_LU
	scratch_load_b64 v[14:15], off, off offset:604 th:TH_LOAD_LU
	;; [unrolled: 1-line block ×3, first 2 shown]
	s_wait_loadcnt 0x4
	v_mul_f64_e32 v[76:77], v[120:121], v[76:77]
	s_wait_loadcnt 0x3
	v_mul_f64_e32 v[66:67], v[58:59], v[78:79]
	v_mul_f64_e32 v[86:87], v[120:121], v[86:87]
	s_wait_loadcnt 0x1
	v_mul_f64_e32 v[32:33], v[183:184], v[14:15]
	v_mul_f64_e32 v[120:121], v[120:121], v[94:95]
	;; [unrolled: 1-line block ×5, first 2 shown]
	s_delay_alu instid0(VALU_DEP_4) | instskip(NEXT) | instid1(VALU_DEP_4)
	v_mul_f64_e32 v[120:121], v[138:139], v[120:121]
	v_mul_f64_e32 v[122:123], v[156:157], v[76:77]
	s_delay_alu instid0(VALU_DEP_4) | instskip(SKIP_3) | instid1(VALU_DEP_3)
	v_fma_f64 v[62:63], v[152:153], v[66:67], v[62:63]
	v_mul_f64_e32 v[66:67], v[132:133], v[78:79]
	v_mul_f64_e32 v[76:77], v[110:111], v[76:77]
	;; [unrolled: 1-line block ×4, first 2 shown]
	s_delay_alu instid0(VALU_DEP_2) | instskip(SKIP_1) | instid1(VALU_DEP_3)
	v_fma_f64 v[76:77], v[126:127], v[76:77], v[120:121]
	v_mul_f64_e32 v[120:121], v[126:127], v[122:123]
	v_fma_f64 v[10:11], v[102:103], v[66:67], v[10:11]
	v_mul_f64_e32 v[66:67], v[185:186], v[12:13]
	scratch_load_b64 v[12:13], off, off offset:596 th:TH_LOAD_LU ; 8-byte Folded Reload
	v_mul_f64_e32 v[120:121], v[52:53], v[120:121]
	v_mul_f64_e32 v[66:67], v[4:5], v[66:67]
	s_delay_alu instid0(VALU_DEP_2) | instskip(NEXT) | instid1(VALU_DEP_1)
	v_fma_f64 v[86:87], v[154:155], v[86:87], v[120:121]
	v_add_f64_e64 v[8:9], v[86:87], -v[8:9]
	s_delay_alu instid0(VALU_DEP_1)
	v_mul_f64_e32 v[8:9], s[12:13], v[8:9]
	s_wait_loadcnt 0x0
	v_mul_f64_e32 v[78:79], v[2:3], v[12:13]
	scratch_load_b64 v[12:13], off, off offset:484 th:TH_LOAD_LU ; 8-byte Folded Reload
	v_fma_f64 v[66:67], v[187:188], v[78:79], v[66:67]
	v_mul_f64_e32 v[78:79], v[185:186], v[14:15]
	scratch_load_b64 v[14:15], off, off offset:412 th:TH_LOAD_LU ; 8-byte Folded Reload
	v_mul_f64_e32 v[78:79], v[2:3], v[78:79]
	s_delay_alu instid0(VALU_DEP_1) | instskip(SKIP_1) | instid1(VALU_DEP_1)
	v_mul_f64_e32 v[78:79], v[142:143], v[78:79]
	s_wait_loadcnt 0x1
	v_fma_f64 v[36:37], v[187:188], v[12:13], v[78:79]
	scratch_load_b64 v[12:13], off, off offset:588 th:TH_LOAD_LU ; 8-byte Folded Reload
	v_add_f64_e64 v[28:29], v[36:37], -v[40:41]
	v_mul_f64_e32 v[36:37], v[58:59], v[84:85]
	s_delay_alu instid0(VALU_DEP_2) | instskip(NEXT) | instid1(VALU_DEP_2)
	v_fma_f64 v[22:23], v[28:29], s[16:17], -v[22:23]
	v_mul_f64_e32 v[36:37], v[98:99], v[36:37]
	v_add_f64_e32 v[28:29], v[158:159], v[44:45]
	s_delay_alu instid0(VALU_DEP_2)
	v_mul_f64_e32 v[36:37], v[106:107], v[36:37]
	s_wait_loadcnt 0x0
	v_mul_f64_e32 v[78:79], v[187:188], v[12:13]
	scratch_load_b64 v[12:13], off, off offset:452 th:TH_LOAD_LU ; 8-byte Folded Reload
	v_fma_f64 v[2:3], v[2:3], v[32:33], v[78:79]
	scratch_load_b64 v[32:33], off, off offset:300 th:TH_LOAD_LU ; 8-byte Folded Reload
	s_wait_loadcnt 0x1
	v_fma_f64 v[24:25], v[183:184], v[12:13], v[66:67]
	s_clause 0x1
	scratch_load_b64 v[12:13], off, off offset:436 th:TH_LOAD_LU
	scratch_load_b64 v[66:67], off, off offset:236 th:TH_LOAD_LU
	s_wait_loadcnt 0x2
	v_add_co_u32 v32, vcc_lo, s10, v32
	s_wait_alu 0xfffd
	v_add_co_ci_u32_e64 v33, null, s11, v33, vcc_lo
	v_add_f64_e64 v[24:25], v[24:25], -v[42:43]
	s_wait_loadcnt 0x1
	v_add_f64_e64 v[16:17], v[74:75], -v[12:13]
	scratch_load_b64 v[12:13], off, off offset:620 th:TH_LOAD_LU ; 8-byte Folded Reload
	v_mul_f64_e32 v[16:17], s[12:13], v[16:17]
	s_wait_loadcnt 0x0
	v_add_f64_e64 v[2:3], v[2:3], -v[12:13]
	scratch_load_b64 v[12:13], off, off offset:228 th:TH_LOAD_LU ; 8-byte Folded Reload
	v_add_co_u32 v66, vcc_lo, s10, v66
	s_wait_alu 0xfffd
	v_add_co_ci_u32_e64 v67, null, s11, v67, vcc_lo
	v_fma_f64 v[2:3], v[2:3], s[16:17], -v[16:17]
	v_mul_f64_e32 v[16:17], v[64:65], v[94:95]
	s_delay_alu instid0(VALU_DEP_2) | instskip(NEXT) | instid1(VALU_DEP_2)
	v_fma_f64 v[2:3], v[142:143], v[2:3], v[28:29]
	v_mul_f64_e32 v[16:17], v[138:139], v[16:17]
	s_delay_alu instid0(VALU_DEP_1) | instskip(NEXT) | instid1(VALU_DEP_1)
	v_mul_f64_e32 v[16:17], v[110:111], v[16:17]
	v_fma_f64 v[16:17], v[52:53], v[16:17], v[114:115]
	s_wait_loadcnt 0x0
	v_mul_f64_e32 v[12:13], s[12:13], v[12:13]
	s_delay_alu instid0(VALU_DEP_1)
	v_fma_f64 v[12:13], v[14:15], s[16:17], -v[12:13]
	scratch_load_b64 v[14:15], off, off offset:420 th:TH_LOAD_LU ; 8-byte Folded Reload
	s_clause 0x1
	global_load_b64 v[32:33], v[32:33], off
	global_load_b64 v[38:39], v[66:67], off
	s_clause 0x1
	scratch_load_b64 v[40:41], off, off offset:188 th:TH_LOAD_LU
	scratch_load_b64 v[54:55], off, off offset:72 th:TH_LOAD_LU
	s_wait_loadcnt 0x2
	v_mul_f64_e32 v[42:43], v[112:113], v[38:39]
	s_wait_loadcnt 0x1
	v_mul_f64_e32 v[40:41], v[40:41], v[32:33]
	s_wait_loadcnt 0x0
	v_mul_f64_e32 v[32:33], v[54:55], v[32:33]
	v_mul_f64_e32 v[14:15], s[12:13], v[14:15]
	v_mul_f64_e32 v[38:39], v[54:55], v[38:39]
	;; [unrolled: 1-line block ×6, first 2 shown]
	v_fma_f64 v[14:15], v[18:19], s[16:17], -v[14:15]
	v_add_f64_e64 v[18:19], v[34:35], -v[72:73]
	v_mul_f64_e32 v[34:35], v[50:51], v[80:81]
	v_mul_f64_e32 v[38:39], v[104:105], v[38:39]
	v_mul_f64_e32 v[40:41], v[92:93], v[40:41]
	v_add_f64_e32 v[14:15], v[46:47], v[14:15]
	v_mul_f64_e32 v[18:19], s[12:13], v[18:19]
	v_mul_f64_e32 v[34:35], v[20:21], v[34:35]
	;; [unrolled: 1-line block ×4, first 2 shown]
	v_add_f64_e32 v[14:15], v[30:31], v[14:15]
	v_fma_f64 v[18:19], v[24:25], s[16:17], -v[18:19]
	v_mul_f64_e32 v[34:35], v[116:117], v[34:35]
	v_mul_f64_e32 v[20:21], v[92:93], v[20:21]
	v_mul_f64_e32 v[40:41], v[52:53], v[40:41]
	v_add_f64_e32 v[14:15], v[14:15], v[22:23]
	s_delay_alu instid0(VALU_DEP_4) | instskip(NEXT) | instid1(VALU_DEP_3)
	v_fma_f64 v[34:35], v[52:53], v[34:35], v[60:61]
	v_fma_f64 v[40:41], v[118:119], v[42:43], v[40:41]
	v_mul_f64_e32 v[42:43], v[118:119], v[32:33]
	v_mul_f64_e32 v[32:33], v[100:101], v[32:33]
	s_delay_alu instid0(VALU_DEP_4) | instskip(NEXT) | instid1(VALU_DEP_4)
	v_add_f64_e64 v[16:17], v[16:17], -v[34:35]
	v_fma_f64 v[24:25], v[52:53], v[48:49], v[40:41]
	s_delay_alu instid0(VALU_DEP_4) | instskip(NEXT) | instid1(VALU_DEP_4)
	v_mul_f64_e32 v[42:43], v[6:7], v[42:43]
	v_fma_f64 v[6:7], v[6:7], v[32:33], v[20:21]
	v_fma_f64 v[32:33], v[52:53], v[36:37], v[62:63]
	v_add_f64_e64 v[20:21], v[76:77], -v[90:91]
	v_mul_f64_e32 v[16:17], s[12:13], v[16:17]
	v_mul_f64_e32 v[42:43], v[52:53], v[42:43]
	v_add_f64_e64 v[6:7], v[6:7], -v[108:109]
	v_add_f64_e64 v[24:25], v[24:25], -v[32:33]
	v_mul_f64_e32 v[20:21], s[12:13], v[20:21]
	s_delay_alu instid0(VALU_DEP_4) | instskip(SKIP_1) | instid1(VALU_DEP_2)
	v_fma_f64 v[38:39], v[92:93], v[38:39], v[42:43]
	v_add_f64_e32 v[42:43], v[70:71], v[134:135]
	v_add_f64_e64 v[10:11], v[38:39], -v[10:11]
	s_delay_alu instid0(VALU_DEP_2) | instskip(NEXT) | instid1(VALU_DEP_2)
	v_add_f64_e32 v[12:13], v[42:43], v[12:13]
	v_fma_f64 v[8:9], v[10:11], s[16:17], -v[8:9]
	s_delay_alu instid0(VALU_DEP_2) | instskip(SKIP_2) | instid1(VALU_DEP_3)
	v_add_f64_e32 v[12:13], v[26:27], v[12:13]
	v_fma_f64 v[10:11], v[24:25], s[16:17], -v[16:17]
	v_fma_f64 v[16:17], v[6:7], s[16:17], -v[20:21]
	v_fma_f64 v[12:13], v[142:143], v[18:19], v[12:13]
	s_delay_alu instid0(VALU_DEP_3)
	v_add_f64_e32 v[6:7], v[14:15], v[10:11]
	scratch_load_b64 v[10:11], off, off offset:476 th:TH_LOAD_LU ; 8-byte Folded Reload
	v_fma_f64 v[2:3], v[52:53], v[16:17], v[2:3]
	v_add_f64_e32 v[8:9], v[12:13], v[8:9]
	s_wait_loadcnt 0x0
	scratch_load_b64 v[11:12], off, off offset:508 th:TH_LOAD_LU ; 8-byte Folded Reload
	s_wait_loadcnt 0x0
	scratch_load_b64 v[12:13], off, off offset:532 th:TH_LOAD_LU ; 8-byte Folded Reload
	;; [unrolled: 2-line block ×3, first 2 shown]
	v_subrev_nc_u32_e32 v10, s18, v10
	v_subrev_nc_u32_e32 v11, s18, v11
	v_subrev_nc_u32_e32 v12, s18, v12
	s_wait_loadcnt 0x0
	v_subrev_nc_u32_e32 v13, s18, v13
.LBB4_11:                               ; =>This Inner Loop Header: Depth=1
	s_delay_alu instid0(VALU_DEP_1) | instskip(NEXT) | instid1(VALU_DEP_3)
	v_add_nc_u32_e32 v14, s33, v13
	v_add_nc_u32_e32 v22, s33, v12
	;; [unrolled: 1-line block ×5, first 2 shown]
	v_ashrrev_i32_e32 v15, 31, v14
	v_ashrrev_i32_e32 v23, 31, v22
	;; [unrolled: 1-line block ×3, first 2 shown]
	v_add_nc_u32_e32 v40, s33, v164
	v_add_nc_u32_e32 v54, s33, v89
	v_lshlrev_b64_e32 v[26:27], 3, v[14:15]
	v_lshlrev_b64_e32 v[68:69], 3, v[22:23]
	;; [unrolled: 1-line block ×3, first 2 shown]
	v_add_nc_u32_e32 v42, s33, v96
	v_add_nc_u32_e32 v60, s33, v146
	v_ashrrev_i32_e32 v39, 31, v38
	v_add_co_u32 v18, vcc_lo, s4, v26
	s_wait_alu 0xfffd
	v_add_co_ci_u32_e64 v19, null, s5, v27, vcc_lo
	v_add_co_u32 v22, vcc_lo, s6, v68
	s_wait_alu 0xfffd
	v_add_co_ci_u32_e64 v23, null, s7, v69, vcc_lo
	s_clause 0x1
	global_load_b128 v[14:17], v[18:19], off offset:8
	global_load_b128 v[18:21], v[18:19], off offset:-16
	v_add_co_u32 v24, vcc_lo, s8, v68
	s_wait_alu 0xfffd
	v_add_co_ci_u32_e64 v25, null, s9, v69, vcc_lo
	v_add_co_u32 v72, vcc_lo, s10, v26
	s_wait_alu 0xfffd
	v_add_co_ci_u32_e64 v73, null, s11, v27, vcc_lo
	;; [unrolled: 3-line block ×4, first 2 shown]
	global_load_b64 v[74:75], v[22:23], off
	global_load_b64 v[76:77], v[24:25], off
	s_clause 0x3
	global_load_b128 v[22:25], v[26:27], off offset:8
	global_load_b128 v[26:29], v[26:27], off offset:-16
	global_load_b128 v[30:33], v[34:35], off offset:8
	global_load_b128 v[34:37], v[34:35], off offset:-16
	global_load_b64 v[72:73], v[72:73], off
	v_add_co_u32 v68, vcc_lo, s10, v68
	s_wait_alu 0xfffd
	v_add_co_ci_u32_e64 v69, null, s11, v69, vcc_lo
	v_ashrrev_i32_e32 v49, 31, v48
	v_add_nc_u32_e32 v62, s33, v88
	v_ashrrev_i32_e32 v41, 31, v40
	global_load_b64 v[68:69], v[68:69], off
	v_ashrrev_i32_e32 v55, 31, v54
	v_ashrrev_i32_e32 v43, 31, v42
	;; [unrolled: 1-line block ×3, first 2 shown]
	v_lshlrev_b64_e32 v[38:39], 3, v[38:39]
	v_lshlrev_b64_e32 v[48:49], 3, v[48:49]
	v_ashrrev_i32_e32 v63, 31, v62
	v_lshlrev_b64_e32 v[40:41], 3, v[40:41]
	v_lshlrev_b64_e32 v[54:55], 3, v[54:55]
	;; [unrolled: 1-line block ×4, first 2 shown]
	v_add_co_u32 v70, vcc_lo, s10, v70
	v_lshlrev_b64_e32 v[62:63], 3, v[62:63]
	s_wait_alu 0xfffd
	v_add_co_ci_u32_e64 v71, null, s11, v71, vcc_lo
	v_add_co_u32 v38, vcc_lo, s10, v38
	v_add_co_u32 v48, s2, s4, v48
	s_wait_alu 0xfffd
	v_add_co_ci_u32_e64 v39, null, s11, v39, vcc_lo
	v_add_co_u32 v40, vcc_lo, s4, v40
	s_wait_alu 0xf1ff
	v_add_co_ci_u32_e64 v49, null, s5, v49, s2
	v_add_co_u32 v54, s2, s4, v54
	s_wait_alu 0xfffd
	v_add_co_ci_u32_e64 v41, null, s5, v41, vcc_lo
	v_add_co_u32 v42, vcc_lo, s4, v42
	s_wait_alu 0xf1ff
	v_add_co_ci_u32_e64 v55, null, s5, v55, s2
	v_add_co_u32 v60, s2, s4, v60
	s_wait_alu 0xfffd
	v_add_co_ci_u32_e64 v43, null, s5, v43, vcc_lo
	s_wait_alu 0xf1ff
	v_add_co_ci_u32_e64 v61, null, s5, v61, s2
	v_add_co_u32 v62, s2, s4, v62
	s_wait_alu 0xf1ff
	v_add_co_ci_u32_e64 v63, null, s5, v63, s2
	global_load_b64 v[70:71], v[70:71], off
	s_clause 0x5
	global_load_b64 v[40:41], v[40:41], off
	global_load_b64 v[42:43], v[42:43], off
	;; [unrolled: 1-line block ×6, first 2 shown]
	v_add_nc_u32_e32 v44, s33, v191
	v_add_nc_u32_e32 v46, s33, v147
	;; [unrolled: 1-line block ×5, first 2 shown]
	v_ashrrev_i32_e32 v45, 31, v44
	v_ashrrev_i32_e32 v47, 31, v46
	;; [unrolled: 1-line block ×3, first 2 shown]
	v_add_nc_u32_e32 v66, s33, v97
	v_ashrrev_i32_e32 v59, 31, v58
	v_lshlrev_b64_e32 v[44:45], 3, v[44:45]
	v_lshlrev_b64_e32 v[46:47], 3, v[46:47]
	v_ashrrev_i32_e32 v65, 31, v64
	v_lshlrev_b64_e32 v[56:57], 3, v[56:57]
	v_ashrrev_i32_e32 v67, 31, v66
	v_lshlrev_b64_e32 v[58:59], 3, v[58:59]
	v_add_co_u32 v44, vcc_lo, s4, v44
	v_lshlrev_b64_e32 v[64:65], 3, v[64:65]
	s_wait_alu 0xfffd
	v_add_co_ci_u32_e64 v45, null, s5, v45, vcc_lo
	v_add_co_u32 v46, vcc_lo, s4, v46
	v_lshlrev_b64_e32 v[66:67], 3, v[66:67]
	s_wait_alu 0xfffd
	v_add_co_ci_u32_e64 v47, null, s5, v47, vcc_lo
	v_add_co_u32 v56, vcc_lo, s4, v56
	s_wait_alu 0xfffd
	v_add_co_ci_u32_e64 v57, null, s5, v57, vcc_lo
	v_add_co_u32 v58, vcc_lo, s4, v58
	;; [unrolled: 3-line block ×4, first 2 shown]
	s_wait_alu 0xfffd
	v_add_co_ci_u32_e64 v67, null, s5, v67, vcc_lo
	global_load_b64 v[38:39], v[38:39], off
	s_clause 0x5
	global_load_b64 v[44:45], v[44:45], off
	global_load_b64 v[46:47], v[46:47], off
	;; [unrolled: 1-line block ×6, first 2 shown]
	v_ashrrev_i32_e32 v177, 31, v176
	v_add_nc_u32_e32 v147, s24, v147
	v_add_nc_u32_e32 v150, s24, v150
	v_add_nc_u32_e32 v97, s24, v97
	v_add_nc_u32_e32 v191, s24, v191
	v_add_nc_u32_e32 v124, s24, v124
	v_add_nc_u32_e32 v125, s24, v125
	v_add_nc_u32_e32 v96, s24, v96
	v_add_nc_u32_e32 v89, s24, v89
	v_add_nc_u32_e32 v88, s24, v88
	v_add_nc_u32_e32 v164, s24, v164
	v_add_nc_u32_e32 v165, s24, v165
	v_add_nc_u32_e32 v146, s24, v146
	v_add_nc_u32_e32 v10, s24, v10
	v_add_nc_u32_e32 v11, s24, v11
	v_add_nc_u32_e32 v12, s24, v12
	v_add_nc_u32_e32 v13, s24, v13
	s_add_co_i32 s3, s3, 1
	s_wait_alu 0xfffe
	s_cmp_ge_i32 s3, s34
	s_wait_loadcnt 0x16
	v_add_f64_e64 v[16:17], v[16:17], -v[18:19]
	v_add_f64_e64 v[14:15], v[14:15], -v[20:21]
	s_wait_loadcnt 0x14
	v_fma_f64 v[18:19], v[74:75], 2.0, v[76:77]
	s_wait_loadcnt 0x12
	v_add_f64_e64 v[24:25], v[24:25], -v[26:27]
	v_add_f64_e64 v[22:23], v[22:23], -v[28:29]
	s_wait_loadcnt 0x10
	v_add_f64_e64 v[20:21], v[32:33], -v[34:35]
	s_wait_loadcnt 0xf
	v_mul_f64_e32 v[26:27], v[74:75], v[72:73]
	v_lshlrev_b64_e32 v[32:33], 3, v[176:177]
	v_add_f64_e64 v[28:29], v[30:31], -v[36:37]
	v_add_nc_u32_e32 v176, -6, v176
	s_delay_alu instid0(VALU_DEP_3) | instskip(SKIP_1) | instid1(VALU_DEP_4)
	v_add_co_u32 v32, vcc_lo, s14, v32
	s_wait_alu 0xfffd
	v_add_co_ci_u32_e64 v33, null, s15, v33, vcc_lo
	global_load_b64 v[32:33], v[32:33], off
	v_mul_f64_e32 v[16:17], s[12:13], v[16:17]
	v_mul_f64_e32 v[30:31], v[18:19], v[72:73]
	v_mul_f64_e32 v[24:25], s[12:13], v[24:25]
	v_mul_f64_e32 v[20:21], s[12:13], v[20:21]
	s_wait_loadcnt 0xf
	v_mul_f64_e32 v[26:27], v[26:27], v[68:69]
	s_wait_loadcnt 0xe
	v_mul_f64_e32 v[36:37], v[74:75], v[70:71]
	v_mul_f64_e32 v[18:19], v[18:19], v[70:71]
	s_wait_loadcnt 0xa
	v_add_f64_e64 v[34:35], v[48:49], -v[54:55]
	v_fma_f64 v[14:15], v[14:15], s[16:17], -v[16:17]
	v_add_f64_e64 v[16:17], v[40:41], -v[42:43]
	s_wait_loadcnt 0x8
	v_add_f64_e64 v[40:41], v[60:61], -v[62:63]
	v_mul_f64_e32 v[30:31], v[30:31], v[68:69]
	v_fma_f64 v[22:23], v[22:23], s[16:17], -v[24:25]
	v_fma_f64 v[20:21], v[28:29], s[16:17], -v[20:21]
	v_mul_f64_e32 v[36:37], v[68:69], v[36:37]
	v_mul_f64_e32 v[18:19], v[68:69], v[18:19]
	;; [unrolled: 1-line block ×3, first 2 shown]
	s_wait_loadcnt 0x7
	v_mul_f64_e32 v[28:29], v[74:75], v[38:39]
	v_mul_f64_e32 v[38:39], v[76:77], v[38:39]
	s_wait_loadcnt 0x5
	v_add_f64_e64 v[42:43], v[44:45], -v[46:47]
	v_mul_f64_e32 v[46:47], v[76:77], v[70:71]
	s_wait_loadcnt 0x3
	v_add_f64_e64 v[44:45], v[56:57], -v[58:59]
	s_wait_loadcnt 0x1
	v_add_f64_e64 v[48:49], v[64:65], -v[66:67]
	v_mul_f64_e32 v[24:25], v[26:27], v[14:15]
	v_mul_f64_e32 v[16:17], s[12:13], v[16:17]
	;; [unrolled: 1-line block ×9, first 2 shown]
	v_fma_f64 v[34:35], v[44:45], s[16:17], -v[34:35]
	v_mul_f64_e32 v[24:25], v[0:1], v[24:25]
	v_fma_f64 v[16:17], v[42:43], s[16:17], -v[16:17]
	v_fma_f64 v[40:41], v[48:49], s[16:17], -v[40:41]
	v_mul_f64_e32 v[30:31], v[0:1], v[30:31]
	v_mul_f64_e32 v[42:43], v[0:1], v[54:55]
	;; [unrolled: 1-line block ×8, first 2 shown]
	v_fma_f64 v[14:15], v[142:143], v[30:31], v[14:15]
	v_mul_f64_e32 v[30:31], v[142:143], v[42:43]
	v_mul_f64_e32 v[18:19], v[4:5], v[18:19]
	v_fma_f64 v[22:23], v[46:47], v[22:23], v[24:25]
	v_mul_f64_e32 v[24:25], v[76:77], v[72:73]
	v_mul_f64_e32 v[42:43], v[4:5], v[44:45]
	;; [unrolled: 1-line block ×3, first 2 shown]
	v_fma_f64 v[14:15], v[142:143], v[20:21], v[14:15]
	v_fma_f64 v[20:21], v[142:143], v[48:49], v[30:31]
	;; [unrolled: 1-line block ×3, first 2 shown]
	v_mul_f64_e32 v[22:23], v[24:25], v[68:69]
	v_mul_f64_e32 v[24:25], v[28:29], v[40:41]
	;; [unrolled: 1-line block ×3, first 2 shown]
	v_fma_f64 v[14:15], v[52:53], v[42:43], v[14:15]
	v_fma_f64 v[20:21], v[52:53], v[36:37], v[20:21]
	;; [unrolled: 1-line block ×3, first 2 shown]
	s_delay_alu instid0(VALU_DEP_3) | instskip(NEXT) | instid1(VALU_DEP_3)
	v_fma_f64 v[14:15], v[22:23], v[34:35], v[14:15]
	v_fma_f64 v[18:19], v[52:53], v[26:27], v[20:21]
	s_delay_alu instid0(VALU_DEP_3) | instskip(SKIP_1) | instid1(VALU_DEP_3)
	v_fma_f64 v[16:17], v[52:53], v[24:25], v[16:17]
	s_wait_loadcnt 0x0
	v_fma_f64 v[8:9], -v[32:33], v[14:15], v[8:9]
	s_delay_alu instid0(VALU_DEP_3) | instskip(NEXT) | instid1(VALU_DEP_3)
	v_fma_f64 v[2:3], -v[32:33], v[18:19], v[2:3]
	v_fma_f64 v[6:7], -v[32:33], v[16:17], v[6:7]
	s_cbranch_scc0 .LBB4_11
; %bb.12:
	s_clause 0x1
	scratch_load_b64 v[20:21], off, off offset:24 th:TH_LOAD_LU
	scratch_load_b64 v[10:11], off, off offset:32 th:TH_LOAD_LU
	v_mul_f64_e32 v[0:1], v[0:1], v[4:5]
	s_load_b128 s[0:3], s[0:1], 0x38
	s_wait_kmcnt 0x0
	v_mul_f64_e32 v[8:9], s[2:3], v[8:9]
	v_mul_f64_e32 v[6:7], s[2:3], v[6:7]
	;; [unrolled: 1-line block ×3, first 2 shown]
	s_wait_loadcnt 0x1
	s_delay_alu instid0(VALU_DEP_4)
	v_div_scale_f64 v[4:5], null, v[20:21], v[20:21], v[0:1]
	s_wait_loadcnt 0x0
	v_add_co_u32 v10, vcc_lo, s30, v10
	s_wait_alu 0xfffd
	v_add_co_ci_u32_e64 v11, null, s31, v11, vcc_lo
	v_div_scale_f64 v[18:19], vcc_lo, v[0:1], v[20:21], v[0:1]
	global_load_b64 v[12:13], v[10:11], off
	v_rcp_f64_e32 v[14:15], v[4:5]
	s_delay_alu instid0(TRANS32_DEP_1) | instskip(NEXT) | instid1(VALU_DEP_1)
	v_fma_f64 v[16:17], -v[4:5], v[14:15], 1.0
	v_fma_f64 v[14:15], v[14:15], v[16:17], v[14:15]
	s_delay_alu instid0(VALU_DEP_1) | instskip(NEXT) | instid1(VALU_DEP_1)
	v_fma_f64 v[16:17], -v[4:5], v[14:15], 1.0
	v_fma_f64 v[14:15], v[14:15], v[16:17], v[14:15]
	s_delay_alu instid0(VALU_DEP_1) | instskip(NEXT) | instid1(VALU_DEP_1)
	v_mul_f64_e32 v[16:17], v[18:19], v[14:15]
	v_fma_f64 v[4:5], -v[4:5], v[16:17], v[18:19]
	s_wait_alu 0xfffd
	s_delay_alu instid0(VALU_DEP_1) | instskip(SKIP_2) | instid1(VALU_DEP_2)
	v_div_fmas_f64 v[4:5], v[4:5], v[14:15], v[16:17]
	s_wait_loadcnt 0x0
	v_mul_f64_e32 v[12:13], s[0:1], v[12:13]
	v_div_fixup_f64 v[0:1], v[4:5], v[20:21], v[0:1]
	s_delay_alu instid0(VALU_DEP_1)
	v_fma_f64 v[4:5], v[0:1], v[8:9], v[12:13]
	scratch_load_b64 v[8:9], off, off offset:116 th:TH_LOAD_LU ; 8-byte Folded Reload
	global_store_b64 v[10:11], v[4:5], off
	s_wait_loadcnt 0x0
	v_add_co_u32 v8, vcc_lo, s30, v8
	s_wait_alu 0xfffd
	v_add_co_ci_u32_e64 v9, null, s31, v9, vcc_lo
	global_load_b64 v[4:5], v[8:9], off
	s_wait_loadcnt 0x0
	v_mul_f64_e32 v[4:5], s[0:1], v[4:5]
	s_delay_alu instid0(VALU_DEP_1)
	v_fma_f64 v[4:5], v[0:1], v[6:7], v[4:5]
	scratch_load_b64 v[6:7], off, off offset:140 th:TH_LOAD_LU ; 8-byte Folded Reload
	global_store_b64 v[8:9], v[4:5], off
	s_wait_loadcnt 0x0
	v_add_co_u32 v6, vcc_lo, s30, v6
	s_wait_alu 0xfffd
	v_add_co_ci_u32_e64 v7, null, s31, v7, vcc_lo
	global_load_b64 v[4:5], v[6:7], off
	s_wait_loadcnt 0x0
	v_mul_f64_e32 v[4:5], s[0:1], v[4:5]
	s_delay_alu instid0(VALU_DEP_1)
	v_fma_f64 v[0:1], v[0:1], v[2:3], v[4:5]
	global_store_b64 v[6:7], v[0:1], off
.LBB4_13:
	s_nop 0
	s_sendmsg sendmsg(MSG_DEALLOC_VGPRS)
	s_endpgm
	.section	.rodata,"a",@progbits
	.p2align	6, 0x0
	.amdhsa_kernel _Z7kernel5iiiiiiiiiiiiiddPKdS0_S0_S0_S0_PdS0_S0_S0_S0_S0_S0_S0_
		.amdhsa_group_segment_fixed_size 0
		.amdhsa_private_segment_fixed_size 664
		.amdhsa_kernarg_size 432
		.amdhsa_user_sgpr_count 2
		.amdhsa_user_sgpr_dispatch_ptr 0
		.amdhsa_user_sgpr_queue_ptr 0
		.amdhsa_user_sgpr_kernarg_segment_ptr 1
		.amdhsa_user_sgpr_dispatch_id 0
		.amdhsa_user_sgpr_private_segment_size 0
		.amdhsa_wavefront_size32 1
		.amdhsa_uses_dynamic_stack 0
		.amdhsa_enable_private_segment 1
		.amdhsa_system_sgpr_workgroup_id_x 1
		.amdhsa_system_sgpr_workgroup_id_y 1
		.amdhsa_system_sgpr_workgroup_id_z 1
		.amdhsa_system_sgpr_workgroup_info 0
		.amdhsa_system_vgpr_workitem_id 2
		.amdhsa_next_free_vgpr 192
		.amdhsa_next_free_sgpr 43
		.amdhsa_reserve_vcc 1
		.amdhsa_float_round_mode_32 0
		.amdhsa_float_round_mode_16_64 0
		.amdhsa_float_denorm_mode_32 3
		.amdhsa_float_denorm_mode_16_64 3
		.amdhsa_fp16_overflow 0
		.amdhsa_workgroup_processor_mode 1
		.amdhsa_memory_ordered 1
		.amdhsa_forward_progress 1
		.amdhsa_inst_pref_size 134
		.amdhsa_round_robin_scheduling 0
		.amdhsa_exception_fp_ieee_invalid_op 0
		.amdhsa_exception_fp_denorm_src 0
		.amdhsa_exception_fp_ieee_div_zero 0
		.amdhsa_exception_fp_ieee_overflow 0
		.amdhsa_exception_fp_ieee_underflow 0
		.amdhsa_exception_fp_ieee_inexact 0
		.amdhsa_exception_int_div_zero 0
	.end_amdhsa_kernel
	.text
.Lfunc_end4:
	.size	_Z7kernel5iiiiiiiiiiiiiddPKdS0_S0_S0_S0_PdS0_S0_S0_S0_S0_S0_S0_, .Lfunc_end4-_Z7kernel5iiiiiiiiiiiiiddPKdS0_S0_S0_S0_PdS0_S0_S0_S0_S0_S0_S0_
                                        ; -- End function
	.set _Z7kernel5iiiiiiiiiiiiiddPKdS0_S0_S0_S0_PdS0_S0_S0_S0_S0_S0_S0_.num_vgpr, 192
	.set _Z7kernel5iiiiiiiiiiiiiddPKdS0_S0_S0_S0_PdS0_S0_S0_S0_S0_S0_S0_.num_agpr, 0
	.set _Z7kernel5iiiiiiiiiiiiiddPKdS0_S0_S0_S0_PdS0_S0_S0_S0_S0_S0_S0_.numbered_sgpr, 43
	.set _Z7kernel5iiiiiiiiiiiiiddPKdS0_S0_S0_S0_PdS0_S0_S0_S0_S0_S0_S0_.num_named_barrier, 0
	.set _Z7kernel5iiiiiiiiiiiiiddPKdS0_S0_S0_S0_PdS0_S0_S0_S0_S0_S0_S0_.private_seg_size, 664
	.set _Z7kernel5iiiiiiiiiiiiiddPKdS0_S0_S0_S0_PdS0_S0_S0_S0_S0_S0_S0_.uses_vcc, 1
	.set _Z7kernel5iiiiiiiiiiiiiddPKdS0_S0_S0_S0_PdS0_S0_S0_S0_S0_S0_S0_.uses_flat_scratch, 1
	.set _Z7kernel5iiiiiiiiiiiiiddPKdS0_S0_S0_S0_PdS0_S0_S0_S0_S0_S0_S0_.has_dyn_sized_stack, 0
	.set _Z7kernel5iiiiiiiiiiiiiddPKdS0_S0_S0_S0_PdS0_S0_S0_S0_S0_S0_S0_.has_recursion, 0
	.set _Z7kernel5iiiiiiiiiiiiiddPKdS0_S0_S0_S0_PdS0_S0_S0_S0_S0_S0_S0_.has_indirect_call, 0
	.section	.AMDGPU.csdata,"",@progbits
; Kernel info:
; codeLenInByte = 17032
; TotalNumSgprs: 45
; NumVgprs: 192
; ScratchSize: 664
; MemoryBound: 0
; FloatMode: 240
; IeeeMode: 1
; LDSByteSize: 0 bytes/workgroup (compile time only)
; SGPRBlocks: 0
; VGPRBlocks: 23
; NumSGPRsForWavesPerEU: 45
; NumVGPRsForWavesPerEU: 192
; Occupancy: 8
; WaveLimiterHint : 0
; COMPUTE_PGM_RSRC2:SCRATCH_EN: 1
; COMPUTE_PGM_RSRC2:USER_SGPR: 2
; COMPUTE_PGM_RSRC2:TRAP_HANDLER: 0
; COMPUTE_PGM_RSRC2:TGID_X_EN: 1
; COMPUTE_PGM_RSRC2:TGID_Y_EN: 1
; COMPUTE_PGM_RSRC2:TGID_Z_EN: 1
; COMPUTE_PGM_RSRC2:TIDIG_COMP_CNT: 2
	.text
	.p2alignl 7, 3214868480
	.fill 96, 4, 3214868480
	.section	.AMDGPU.gpr_maximums,"",@progbits
	.set amdgpu.max_num_vgpr, 0
	.set amdgpu.max_num_agpr, 0
	.set amdgpu.max_num_sgpr, 0
	.text
	.type	__hip_cuid_310f45f669ec475a,@object ; @__hip_cuid_310f45f669ec475a
	.section	.bss,"aw",@nobits
	.globl	__hip_cuid_310f45f669ec475a
__hip_cuid_310f45f669ec475a:
	.byte	0                               ; 0x0
	.size	__hip_cuid_310f45f669ec475a, 1

	.ident	"AMD clang version 22.0.0git (https://github.com/RadeonOpenCompute/llvm-project roc-7.2.4 26084 f58b06dce1f9c15707c5f808fd002e18c2accf7e)"
	.section	".note.GNU-stack","",@progbits
	.addrsig
	.addrsig_sym __hip_cuid_310f45f669ec475a
	.amdgpu_metadata
---
amdhsa.kernels:
  - .args:
      - .offset:         0
        .size:           4
        .value_kind:     by_value
      - .offset:         4
        .size:           4
        .value_kind:     by_value
      - .offset:         8
        .size:           4
        .value_kind:     by_value
      - .offset:         12
        .size:           4
        .value_kind:     by_value
      - .offset:         16
        .size:           4
        .value_kind:     by_value
      - .offset:         20
        .size:           4
        .value_kind:     by_value
      - .offset:         24
        .size:           4
        .value_kind:     by_value
      - .offset:         28
        .size:           4
        .value_kind:     by_value
      - .offset:         32
        .size:           4
        .value_kind:     by_value
      - .offset:         36
        .size:           4
        .value_kind:     by_value
      - .offset:         40
        .size:           4
        .value_kind:     by_value
      - .offset:         44
        .size:           4
        .value_kind:     by_value
      - .offset:         48
        .size:           8
        .value_kind:     by_value
      - .offset:         56
        .size:           8
        .value_kind:     by_value
      - .actual_access:  read_only
        .address_space:  global
        .offset:         64
        .size:           8
        .value_kind:     global_buffer
      - .actual_access:  read_only
        .address_space:  global
        .offset:         72
        .size:           8
        .value_kind:     global_buffer
      - .actual_access:  read_only
        .address_space:  global
        .offset:         80
        .size:           8
        .value_kind:     global_buffer
      - .actual_access:  read_only
        .address_space:  global
        .offset:         88
        .size:           8
        .value_kind:     global_buffer
      - .actual_access:  read_only
        .address_space:  global
        .offset:         96
        .size:           8
        .value_kind:     global_buffer
      - .address_space:  global
        .offset:         104
        .size:           8
        .value_kind:     global_buffer
      - .actual_access:  read_only
        .address_space:  global
        .offset:         112
        .size:           8
        .value_kind:     global_buffer
      - .actual_access:  read_only
        .address_space:  global
        .offset:         120
        .size:           8
        .value_kind:     global_buffer
      - .actual_access:  read_only
        .address_space:  global
        .offset:         128
        .size:           8
        .value_kind:     global_buffer
      - .actual_access:  read_only
        .address_space:  global
        .offset:         136
        .size:           8
        .value_kind:     global_buffer
      - .actual_access:  read_only
        .address_space:  global
        .offset:         144
        .size:           8
        .value_kind:     global_buffer
      - .actual_access:  read_only
        .address_space:  global
        .offset:         152
        .size:           8
        .value_kind:     global_buffer
      - .actual_access:  read_only
        .address_space:  global
        .offset:         160
        .size:           8
        .value_kind:     global_buffer
      - .offset:         168
        .size:           4
        .value_kind:     hidden_block_count_x
      - .offset:         172
        .size:           4
        .value_kind:     hidden_block_count_y
      - .offset:         176
        .size:           4
        .value_kind:     hidden_block_count_z
      - .offset:         180
        .size:           2
        .value_kind:     hidden_group_size_x
      - .offset:         182
        .size:           2
        .value_kind:     hidden_group_size_y
      - .offset:         184
        .size:           2
        .value_kind:     hidden_group_size_z
      - .offset:         186
        .size:           2
        .value_kind:     hidden_remainder_x
      - .offset:         188
        .size:           2
        .value_kind:     hidden_remainder_y
      - .offset:         190
        .size:           2
        .value_kind:     hidden_remainder_z
      - .offset:         208
        .size:           8
        .value_kind:     hidden_global_offset_x
      - .offset:         216
        .size:           8
        .value_kind:     hidden_global_offset_y
      - .offset:         224
        .size:           8
        .value_kind:     hidden_global_offset_z
      - .offset:         232
        .size:           2
        .value_kind:     hidden_grid_dims
    .group_segment_fixed_size: 0
    .kernarg_segment_align: 8
    .kernarg_segment_size: 424
    .language:       OpenCL C
    .language_version:
      - 2
      - 0
    .max_flat_workgroup_size: 1024
    .name:           _Z7kernel1iiiiiiiiiiiiddPKdS0_S0_S0_S0_PdS0_S0_S0_S0_S0_S0_S0_
    .private_segment_fixed_size: 660
    .sgpr_count:     46
    .sgpr_spill_count: 0
    .symbol:         _Z7kernel1iiiiiiiiiiiiddPKdS0_S0_S0_S0_PdS0_S0_S0_S0_S0_S0_S0_.kd
    .uniform_work_group_size: 1
    .uses_dynamic_stack: false
    .vgpr_count:     192
    .vgpr_spill_count: 186
    .wavefront_size: 32
    .workgroup_processor_mode: 1
  - .args:
      - .offset:         0
        .size:           4
        .value_kind:     by_value
      - .offset:         4
        .size:           4
        .value_kind:     by_value
      - .offset:         8
        .size:           4
        .value_kind:     by_value
      - .offset:         12
        .size:           4
        .value_kind:     by_value
      - .offset:         16
        .size:           4
        .value_kind:     by_value
      - .offset:         20
        .size:           4
        .value_kind:     by_value
      - .offset:         24
        .size:           4
        .value_kind:     by_value
      - .offset:         28
        .size:           4
        .value_kind:     by_value
      - .offset:         32
        .size:           4
        .value_kind:     by_value
      - .offset:         36
        .size:           4
        .value_kind:     by_value
      - .offset:         40
        .size:           4
        .value_kind:     by_value
      - .offset:         44
        .size:           4
        .value_kind:     by_value
      - .offset:         48
        .size:           8
        .value_kind:     by_value
      - .offset:         56
        .size:           8
        .value_kind:     by_value
      - .actual_access:  read_only
        .address_space:  global
        .offset:         64
        .size:           8
        .value_kind:     global_buffer
      - .actual_access:  read_only
        .address_space:  global
        .offset:         72
        .size:           8
        .value_kind:     global_buffer
      - .actual_access:  read_only
        .address_space:  global
        .offset:         80
        .size:           8
        .value_kind:     global_buffer
      - .actual_access:  read_only
        .address_space:  global
        .offset:         88
        .size:           8
        .value_kind:     global_buffer
      - .actual_access:  read_only
        .address_space:  global
        .offset:         96
        .size:           8
        .value_kind:     global_buffer
      - .address_space:  global
        .offset:         104
        .size:           8
        .value_kind:     global_buffer
      - .actual_access:  read_only
        .address_space:  global
        .offset:         112
        .size:           8
        .value_kind:     global_buffer
      - .actual_access:  read_only
        .address_space:  global
        .offset:         120
        .size:           8
        .value_kind:     global_buffer
      - .actual_access:  read_only
        .address_space:  global
        .offset:         128
        .size:           8
        .value_kind:     global_buffer
      - .actual_access:  read_only
        .address_space:  global
        .offset:         136
        .size:           8
        .value_kind:     global_buffer
      - .actual_access:  read_only
        .address_space:  global
        .offset:         144
        .size:           8
        .value_kind:     global_buffer
      - .actual_access:  read_only
        .address_space:  global
        .offset:         152
        .size:           8
        .value_kind:     global_buffer
      - .actual_access:  read_only
        .address_space:  global
        .offset:         160
        .size:           8
        .value_kind:     global_buffer
      - .offset:         168
        .size:           4
        .value_kind:     hidden_block_count_x
      - .offset:         172
        .size:           4
        .value_kind:     hidden_block_count_y
      - .offset:         176
        .size:           4
        .value_kind:     hidden_block_count_z
      - .offset:         180
        .size:           2
        .value_kind:     hidden_group_size_x
      - .offset:         182
        .size:           2
        .value_kind:     hidden_group_size_y
      - .offset:         184
        .size:           2
        .value_kind:     hidden_group_size_z
      - .offset:         186
        .size:           2
        .value_kind:     hidden_remainder_x
      - .offset:         188
        .size:           2
        .value_kind:     hidden_remainder_y
      - .offset:         190
        .size:           2
        .value_kind:     hidden_remainder_z
      - .offset:         208
        .size:           8
        .value_kind:     hidden_global_offset_x
      - .offset:         216
        .size:           8
        .value_kind:     hidden_global_offset_y
      - .offset:         224
        .size:           8
        .value_kind:     hidden_global_offset_z
      - .offset:         232
        .size:           2
        .value_kind:     hidden_grid_dims
    .group_segment_fixed_size: 0
    .kernarg_segment_align: 8
    .kernarg_segment_size: 424
    .language:       OpenCL C
    .language_version:
      - 2
      - 0
    .max_flat_workgroup_size: 1024
    .name:           _Z7kernel2iiiiiiiiiiiiddPKdS0_S0_S0_S0_PdS0_S0_S0_S0_S0_S0_S0_
    .private_segment_fixed_size: 436
    .sgpr_count:     30
    .sgpr_spill_count: 0
    .symbol:         _Z7kernel2iiiiiiiiiiiiddPKdS0_S0_S0_S0_PdS0_S0_S0_S0_S0_S0_S0_.kd
    .uniform_work_group_size: 1
    .uses_dynamic_stack: false
    .vgpr_count:     192
    .vgpr_spill_count: 109
    .wavefront_size: 32
    .workgroup_processor_mode: 1
  - .args:
      - .offset:         0
        .size:           4
        .value_kind:     by_value
      - .offset:         4
        .size:           4
        .value_kind:     by_value
      - .offset:         8
        .size:           4
        .value_kind:     by_value
      - .offset:         12
        .size:           4
        .value_kind:     by_value
      - .offset:         16
        .size:           4
        .value_kind:     by_value
      - .offset:         20
        .size:           4
        .value_kind:     by_value
      - .offset:         24
        .size:           4
        .value_kind:     by_value
      - .offset:         28
        .size:           4
        .value_kind:     by_value
      - .offset:         32
        .size:           4
        .value_kind:     by_value
      - .offset:         36
        .size:           4
        .value_kind:     by_value
      - .offset:         40
        .size:           4
        .value_kind:     by_value
      - .offset:         44
        .size:           4
        .value_kind:     by_value
      - .offset:         48
        .size:           8
        .value_kind:     by_value
      - .offset:         56
        .size:           8
        .value_kind:     by_value
      - .actual_access:  read_only
        .address_space:  global
        .offset:         64
        .size:           8
        .value_kind:     global_buffer
      - .actual_access:  read_only
        .address_space:  global
        .offset:         72
        .size:           8
        .value_kind:     global_buffer
      - .actual_access:  read_only
        .address_space:  global
        .offset:         80
        .size:           8
        .value_kind:     global_buffer
      - .actual_access:  read_only
        .address_space:  global
        .offset:         88
        .size:           8
        .value_kind:     global_buffer
      - .actual_access:  read_only
        .address_space:  global
        .offset:         96
        .size:           8
        .value_kind:     global_buffer
      - .address_space:  global
        .offset:         104
        .size:           8
        .value_kind:     global_buffer
      - .actual_access:  read_only
        .address_space:  global
        .offset:         112
        .size:           8
        .value_kind:     global_buffer
      - .actual_access:  read_only
        .address_space:  global
        .offset:         120
        .size:           8
        .value_kind:     global_buffer
      - .actual_access:  read_only
        .address_space:  global
        .offset:         128
        .size:           8
        .value_kind:     global_buffer
      - .actual_access:  read_only
        .address_space:  global
        .offset:         136
        .size:           8
        .value_kind:     global_buffer
      - .actual_access:  read_only
        .address_space:  global
        .offset:         144
        .size:           8
        .value_kind:     global_buffer
      - .actual_access:  read_only
        .address_space:  global
        .offset:         152
        .size:           8
        .value_kind:     global_buffer
      - .actual_access:  read_only
        .address_space:  global
        .offset:         160
        .size:           8
        .value_kind:     global_buffer
      - .offset:         168
        .size:           4
        .value_kind:     hidden_block_count_x
      - .offset:         172
        .size:           4
        .value_kind:     hidden_block_count_y
      - .offset:         176
        .size:           4
        .value_kind:     hidden_block_count_z
      - .offset:         180
        .size:           2
        .value_kind:     hidden_group_size_x
      - .offset:         182
        .size:           2
        .value_kind:     hidden_group_size_y
      - .offset:         184
        .size:           2
        .value_kind:     hidden_group_size_z
      - .offset:         186
        .size:           2
        .value_kind:     hidden_remainder_x
      - .offset:         188
        .size:           2
        .value_kind:     hidden_remainder_y
      - .offset:         190
        .size:           2
        .value_kind:     hidden_remainder_z
      - .offset:         208
        .size:           8
        .value_kind:     hidden_global_offset_x
      - .offset:         216
        .size:           8
        .value_kind:     hidden_global_offset_y
      - .offset:         224
        .size:           8
        .value_kind:     hidden_global_offset_z
      - .offset:         232
        .size:           2
        .value_kind:     hidden_grid_dims
    .group_segment_fixed_size: 0
    .kernarg_segment_align: 8
    .kernarg_segment_size: 424
    .language:       OpenCL C
    .language_version:
      - 2
      - 0
    .max_flat_workgroup_size: 1024
    .name:           _Z7kernel3iiiiiiiiiiiiddPKdS0_S0_S0_S0_PdS0_S0_S0_S0_S0_S0_S0_
    .private_segment_fixed_size: 396
    .sgpr_count:     30
    .sgpr_spill_count: 0
    .symbol:         _Z7kernel3iiiiiiiiiiiiddPKdS0_S0_S0_S0_PdS0_S0_S0_S0_S0_S0_S0_.kd
    .uniform_work_group_size: 1
    .uses_dynamic_stack: false
    .vgpr_count:     192
    .vgpr_spill_count: 106
    .wavefront_size: 32
    .workgroup_processor_mode: 1
  - .args:
      - .offset:         0
        .size:           4
        .value_kind:     by_value
      - .offset:         4
        .size:           4
        .value_kind:     by_value
      - .offset:         8
        .size:           4
        .value_kind:     by_value
      - .offset:         12
        .size:           4
        .value_kind:     by_value
      - .offset:         16
        .size:           4
        .value_kind:     by_value
      - .offset:         20
        .size:           4
        .value_kind:     by_value
      - .offset:         24
        .size:           4
        .value_kind:     by_value
      - .offset:         28
        .size:           4
        .value_kind:     by_value
      - .offset:         32
        .size:           4
        .value_kind:     by_value
      - .offset:         36
        .size:           4
        .value_kind:     by_value
      - .offset:         40
        .size:           4
        .value_kind:     by_value
      - .offset:         44
        .size:           4
        .value_kind:     by_value
      - .offset:         48
        .size:           8
        .value_kind:     by_value
      - .offset:         56
        .size:           8
        .value_kind:     by_value
      - .actual_access:  read_only
        .address_space:  global
        .offset:         64
        .size:           8
        .value_kind:     global_buffer
      - .actual_access:  read_only
        .address_space:  global
        .offset:         72
        .size:           8
        .value_kind:     global_buffer
      - .actual_access:  read_only
        .address_space:  global
        .offset:         80
        .size:           8
        .value_kind:     global_buffer
      - .actual_access:  read_only
        .address_space:  global
        .offset:         88
        .size:           8
        .value_kind:     global_buffer
      - .actual_access:  read_only
        .address_space:  global
        .offset:         96
        .size:           8
        .value_kind:     global_buffer
      - .address_space:  global
        .offset:         104
        .size:           8
        .value_kind:     global_buffer
      - .actual_access:  read_only
        .address_space:  global
        .offset:         112
        .size:           8
        .value_kind:     global_buffer
      - .actual_access:  read_only
        .address_space:  global
        .offset:         120
        .size:           8
        .value_kind:     global_buffer
      - .actual_access:  read_only
        .address_space:  global
        .offset:         128
        .size:           8
        .value_kind:     global_buffer
      - .actual_access:  read_only
        .address_space:  global
        .offset:         136
        .size:           8
        .value_kind:     global_buffer
      - .actual_access:  read_only
        .address_space:  global
        .offset:         144
        .size:           8
        .value_kind:     global_buffer
      - .actual_access:  read_only
        .address_space:  global
        .offset:         152
        .size:           8
        .value_kind:     global_buffer
      - .actual_access:  read_only
        .address_space:  global
        .offset:         160
        .size:           8
        .value_kind:     global_buffer
      - .offset:         168
        .size:           4
        .value_kind:     hidden_block_count_x
      - .offset:         172
        .size:           4
        .value_kind:     hidden_block_count_y
      - .offset:         176
        .size:           4
        .value_kind:     hidden_block_count_z
      - .offset:         180
        .size:           2
        .value_kind:     hidden_group_size_x
      - .offset:         182
        .size:           2
        .value_kind:     hidden_group_size_y
      - .offset:         184
        .size:           2
        .value_kind:     hidden_group_size_z
      - .offset:         186
        .size:           2
        .value_kind:     hidden_remainder_x
      - .offset:         188
        .size:           2
        .value_kind:     hidden_remainder_y
      - .offset:         190
        .size:           2
        .value_kind:     hidden_remainder_z
      - .offset:         208
        .size:           8
        .value_kind:     hidden_global_offset_x
      - .offset:         216
        .size:           8
        .value_kind:     hidden_global_offset_y
      - .offset:         224
        .size:           8
        .value_kind:     hidden_global_offset_z
      - .offset:         232
        .size:           2
        .value_kind:     hidden_grid_dims
    .group_segment_fixed_size: 0
    .kernarg_segment_align: 8
    .kernarg_segment_size: 424
    .language:       OpenCL C
    .language_version:
      - 2
      - 0
    .max_flat_workgroup_size: 1024
    .name:           _Z7kernel4iiiiiiiiiiiiddPKdS0_S0_S0_S0_PdS0_S0_S0_S0_S0_S0_S0_
    .private_segment_fixed_size: 40
    .sgpr_count:     30
    .sgpr_spill_count: 0
    .symbol:         _Z7kernel4iiiiiiiiiiiiddPKdS0_S0_S0_S0_PdS0_S0_S0_S0_S0_S0_S0_.kd
    .uniform_work_group_size: 1
    .uses_dynamic_stack: false
    .vgpr_count:     192
    .vgpr_spill_count: 9
    .wavefront_size: 32
    .workgroup_processor_mode: 1
  - .args:
      - .offset:         0
        .size:           4
        .value_kind:     by_value
      - .offset:         4
        .size:           4
        .value_kind:     by_value
      - .offset:         8
        .size:           4
        .value_kind:     by_value
      - .offset:         12
        .size:           4
        .value_kind:     by_value
      - .offset:         16
        .size:           4
        .value_kind:     by_value
      - .offset:         20
        .size:           4
        .value_kind:     by_value
      - .offset:         24
        .size:           4
        .value_kind:     by_value
      - .offset:         28
        .size:           4
        .value_kind:     by_value
      - .offset:         32
        .size:           4
        .value_kind:     by_value
      - .offset:         36
        .size:           4
        .value_kind:     by_value
      - .offset:         40
        .size:           4
        .value_kind:     by_value
      - .offset:         44
        .size:           4
        .value_kind:     by_value
      - .offset:         48
        .size:           4
        .value_kind:     by_value
      - .offset:         56
        .size:           8
        .value_kind:     by_value
      - .offset:         64
        .size:           8
        .value_kind:     by_value
      - .actual_access:  read_only
        .address_space:  global
        .offset:         72
        .size:           8
        .value_kind:     global_buffer
      - .actual_access:  read_only
        .address_space:  global
        .offset:         80
        .size:           8
        .value_kind:     global_buffer
      - .actual_access:  read_only
        .address_space:  global
        .offset:         88
        .size:           8
        .value_kind:     global_buffer
      - .actual_access:  read_only
        .address_space:  global
        .offset:         96
        .size:           8
        .value_kind:     global_buffer
      - .actual_access:  read_only
        .address_space:  global
        .offset:         104
        .size:           8
        .value_kind:     global_buffer
      - .address_space:  global
        .offset:         112
        .size:           8
        .value_kind:     global_buffer
      - .actual_access:  read_only
        .address_space:  global
        .offset:         120
        .size:           8
        .value_kind:     global_buffer
      - .actual_access:  read_only
        .address_space:  global
        .offset:         128
        .size:           8
        .value_kind:     global_buffer
      - .actual_access:  read_only
        .address_space:  global
        .offset:         136
        .size:           8
        .value_kind:     global_buffer
      - .actual_access:  read_only
        .address_space:  global
        .offset:         144
        .size:           8
        .value_kind:     global_buffer
      - .actual_access:  read_only
        .address_space:  global
        .offset:         152
        .size:           8
        .value_kind:     global_buffer
      - .actual_access:  read_only
        .address_space:  global
        .offset:         160
        .size:           8
        .value_kind:     global_buffer
      - .actual_access:  read_only
        .address_space:  global
        .offset:         168
        .size:           8
        .value_kind:     global_buffer
      - .offset:         176
        .size:           4
        .value_kind:     hidden_block_count_x
      - .offset:         180
        .size:           4
        .value_kind:     hidden_block_count_y
      - .offset:         184
        .size:           4
        .value_kind:     hidden_block_count_z
      - .offset:         188
        .size:           2
        .value_kind:     hidden_group_size_x
      - .offset:         190
        .size:           2
        .value_kind:     hidden_group_size_y
      - .offset:         192
        .size:           2
        .value_kind:     hidden_group_size_z
      - .offset:         194
        .size:           2
        .value_kind:     hidden_remainder_x
      - .offset:         196
        .size:           2
        .value_kind:     hidden_remainder_y
      - .offset:         198
        .size:           2
        .value_kind:     hidden_remainder_z
      - .offset:         216
        .size:           8
        .value_kind:     hidden_global_offset_x
      - .offset:         224
        .size:           8
        .value_kind:     hidden_global_offset_y
      - .offset:         232
        .size:           8
        .value_kind:     hidden_global_offset_z
      - .offset:         240
        .size:           2
        .value_kind:     hidden_grid_dims
    .group_segment_fixed_size: 0
    .kernarg_segment_align: 8
    .kernarg_segment_size: 432
    .language:       OpenCL C
    .language_version:
      - 2
      - 0
    .max_flat_workgroup_size: 1024
    .name:           _Z7kernel5iiiiiiiiiiiiiddPKdS0_S0_S0_S0_PdS0_S0_S0_S0_S0_S0_S0_
    .private_segment_fixed_size: 664
    .sgpr_count:     45
    .sgpr_spill_count: 0
    .symbol:         _Z7kernel5iiiiiiiiiiiiiddPKdS0_S0_S0_S0_PdS0_S0_S0_S0_S0_S0_S0_.kd
    .uniform_work_group_size: 1
    .uses_dynamic_stack: false
    .vgpr_count:     192
    .vgpr_spill_count: 179
    .wavefront_size: 32
    .workgroup_processor_mode: 1
amdhsa.target:   amdgcn-amd-amdhsa--gfx1201
amdhsa.version:
  - 1
  - 2
...

	.end_amdgpu_metadata
